;; amdgpu-corpus repo=ROCm/rocFFT kind=compiled arch=gfx950 opt=O3
	.text
	.amdgcn_target "amdgcn-amd-amdhsa--gfx950"
	.amdhsa_code_object_version 6
	.protected	bluestein_single_fwd_len578_dim1_sp_op_CI_CI ; -- Begin function bluestein_single_fwd_len578_dim1_sp_op_CI_CI
	.globl	bluestein_single_fwd_len578_dim1_sp_op_CI_CI
	.p2align	8
	.type	bluestein_single_fwd_len578_dim1_sp_op_CI_CI,@function
bluestein_single_fwd_len578_dim1_sp_op_CI_CI: ; @bluestein_single_fwd_len578_dim1_sp_op_CI_CI
; %bb.0:
	s_load_dwordx4 s[4:7], s[0:1], 0x28
	v_mul_u32_u24_e32 v1, 0x788, v0
	v_lshrrev_b32_e32 v2, 16, v1
	v_mad_u64_u32 v[56:57], s[2:3], s2, 7, v[2:3]
	v_mov_b32_e32 v7, 0
	v_mov_b32_e32 v57, v7
	s_waitcnt lgkmcnt(0)
	v_cmp_gt_u64_e32 vcc, s[4:5], v[56:57]
	s_and_saveexec_b64 s[2:3], vcc
	s_cbranch_execz .LBB0_10
; %bb.1:
	s_load_dwordx4 s[8:11], s[0:1], 0x0
	s_load_dwordx4 s[12:15], s[0:1], 0x18
	v_mov_b32_e32 v4, s6
	v_mov_b32_e32 v5, s7
	v_mul_lo_u16_e32 v1, 34, v2
	s_mov_b32 s2, 0x24924925
	s_waitcnt lgkmcnt(0)
	s_load_dwordx4 s[4:7], s[14:15], 0x0
	v_sub_u16_e32 v6, v0, v1
	s_load_dwordx4 s[12:15], s[12:13], 0x0
	v_mul_hi_u32 v0, v56, s2
	v_sub_u32_e32 v1, v56, v0
	v_lshrrev_b32_e32 v1, 1, v1
	v_add_u32_e32 v38, v1, v0
	s_waitcnt lgkmcnt(0)
	v_mad_u64_u32 v[0:1], s[2:3], s14, v56, 0
	v_mov_b32_e32 v2, v1
	v_accvgpr_write_b32 a104, v7            ;  Reload Reuse
	v_mad_u64_u32 v[2:3], s[2:3], s15, v56, v[2:3]
	v_accvgpr_write_b32 a106, v6            ;  Reload Reuse
	v_mov_b32_e32 v1, v2
	v_mad_u64_u32 v[2:3], s[2:3], s12, v6, 0
	v_accvgpr_read_b32 v9, a104             ;  Reload Reuse
	v_mov_b32_e32 v6, v3
	v_accvgpr_read_b32 v8, a106             ;  Reload Reuse
	v_mad_u64_u32 v[6:7], s[2:3], s13, v8, v[6:7]
	v_lshl_add_u64 v[0:1], v[0:1], 3, v[4:5]
	v_accvgpr_read_b32 v5, a104             ;  Reload Reuse
	v_mov_b32_e32 v3, v6
	v_accvgpr_read_b32 v4, a106             ;  Reload Reuse
	v_accvgpr_read_b32 v7, a104             ;  Reload Reuse
	v_lshlrev_b32_e32 v4, 3, v4
	v_accvgpr_read_b32 v6, a106             ;  Reload Reuse
	v_mov_b32_e32 v5, v7
	v_lshl_add_u64 v[2:3], v[2:3], 3, v[0:1]
	v_lshl_add_u64 v[6:7], s[8:9], 0, v[4:5]
	v_mov_b32_e32 v5, 0x110
	global_load_dwordx2 v[0:1], v[2:3], off
	v_mad_u64_u32 v[2:3], s[2:3], s12, v5, v[2:3]
	s_mul_i32 s2, s13, 0x110
	s_nop 0
	v_add_u32_e32 v3, s2, v3
	v_mad_u64_u32 v[8:9], s[14:15], s12, v5, v[2:3]
	v_add_u32_e32 v9, s2, v9
	v_mad_u64_u32 v[10:11], s[14:15], s12, v5, v[8:9]
	;; [unrolled: 2-line block ×3, first 2 shown]
	v_add_u32_e32 v13, s2, v13
	global_load_dwordx2 v[74:75], v4, s[8:9]
	global_load_dwordx2 v[72:73], v4, s[8:9] offset:272
	global_load_dwordx2 v[66:67], v4, s[8:9] offset:544
	;; [unrolled: 1-line block ×3, first 2 shown]
	global_load_dwordx2 v[14:15], v[2:3], off
	global_load_dwordx2 v[16:17], v[8:9], off
	global_load_dwordx2 v[18:19], v[10:11], off
	global_load_dwordx2 v[20:21], v[12:13], off
	v_mad_u64_u32 v[2:3], s[14:15], s12, v5, v[12:13]
	v_add_u32_e32 v3, s2, v3
	global_load_dwordx2 v[8:9], v[2:3], off
	v_mad_u64_u32 v[2:3], s[14:15], s12, v5, v[2:3]
	v_add_u32_e32 v3, s2, v3
	global_load_dwordx2 v[10:11], v[2:3], off
	v_mad_u64_u32 v[2:3], s[14:15], s12, v5, v[2:3]
	v_add_u32_e32 v3, s2, v3
	global_load_dwordx2 v[70:71], v4, s[8:9] offset:1088
	global_load_dwordx2 v[12:13], v[2:3], off
	global_load_dwordx2 v[68:69], v4, s[8:9] offset:1360
	global_load_dwordx2 v[60:61], v4, s[8:9] offset:1632
	;; [unrolled: 1-line block ×3, first 2 shown]
	v_mad_u64_u32 v[2:3], s[14:15], s12, v5, v[2:3]
	v_add_u32_e32 v3, s2, v3
	global_load_dwordx2 v[22:23], v[2:3], off
	v_mad_u64_u32 v[2:3], s[14:15], s12, v5, v[2:3]
	v_add_u32_e32 v3, s2, v3
	global_load_dwordx2 v[24:25], v[2:3], off
	;; [unrolled: 3-line block ×3, first 2 shown]
	global_load_dwordx2 v[62:63], v4, s[8:9] offset:2176
	v_mad_u64_u32 v[2:3], s[14:15], s12, v5, v[2:3]
	v_add_u32_e32 v3, s2, v3
	global_load_dwordx2 v[58:59], v4, s[8:9] offset:2448
	global_load_dwordx2 v[28:29], v[2:3], off
	global_load_dwordx2 v[52:53], v4, s[8:9] offset:2720
	global_load_dwordx2 v[46:47], v4, s[8:9] offset:2992
	v_mad_u64_u32 v[2:3], s[14:15], s12, v5, v[2:3]
	v_add_u32_e32 v3, s2, v3
	global_load_dwordx2 v[30:31], v[2:3], off
	v_mad_u64_u32 v[2:3], s[14:15], s12, v5, v[2:3]
	v_add_u32_e32 v3, s2, v3
	global_load_dwordx2 v[32:33], v[2:3], off
	v_mad_u64_u32 v[2:3], s[14:15], s12, v5, v[2:3]
	v_add_u32_e32 v3, s2, v3
	global_load_dwordx2 v[50:51], v4, s[8:9] offset:3264
	global_load_dwordx2 v[34:35], v[2:3], off
	v_mad_u64_u32 v[2:3], s[14:15], s12, v5, v[2:3]
	v_add_u32_e32 v3, s2, v3
	global_load_dwordx2 v[48:49], v4, s[8:9] offset:3536
	global_load_dwordx2 v[36:37], v[2:3], off
	global_load_dwordx2 v[44:45], v4, s[8:9] offset:3808
	global_load_dwordx2 v[42:43], v4, s[8:9] offset:4080
	v_mad_u64_u32 v[2:3], s[12:13], s12, v5, v[2:3]
	v_add_u32_e32 v3, s2, v3
	s_movk_i32 s2, 0x1000
	v_add_co_u32_e32 v6, vcc, s2, v6
	global_load_dwordx2 v[2:3], v[2:3], off
	s_nop 0
	v_addc_co_u32_e32 v7, vcc, 0, v7, vcc
	global_load_dwordx2 v[40:41], v[6:7], off offset:256
	v_lshrrev_b32_e32 v5, 2, v38
	v_mul_lo_u32 v5, v5, 7
	v_sub_u32_e32 v5, v56, v5
	v_mul_u32_u24_e32 v5, 0x242, v5
	v_lshlrev_b32_e32 v5, 3, v5
	v_add_u32_e32 v172, v4, v5
	v_mov_b32_e32 v76, v5
	v_add_u32_e32 v173, 0x800, v172
	v_accvgpr_write_b32 a16, v56
	s_mov_b32 s16, 0xbeb8f4ab
	s_mov_b32 s17, 0x3f6eb680
	;; [unrolled: 1-line block ×10, first 2 shown]
	s_waitcnt vmcnt(32)
	v_mul_f32_e32 v6, v1, v75
	v_fmac_f32_e32 v6, v0, v74
	v_mul_f32_e32 v0, v0, v75
	v_fma_f32 v7, v1, v74, -v0
	s_waitcnt vmcnt(28)
	v_mul_f32_e32 v0, v15, v73
	v_mul_f32_e32 v1, v14, v73
	v_fmac_f32_e32 v0, v14, v72
	v_fma_f32 v1, v15, v72, -v1
	ds_write2_b64 v172, v[6:7], v[0:1] offset1:34
	s_waitcnt vmcnt(27)
	v_mul_f32_e32 v0, v17, v67
	v_mul_f32_e32 v1, v16, v67
	s_waitcnt vmcnt(26)
	v_mul_f32_e32 v4, v19, v65
	v_mul_f32_e32 v5, v18, v65
	v_fmac_f32_e32 v0, v16, v66
	v_fma_f32 v1, v17, v66, -v1
	v_fmac_f32_e32 v4, v18, v64
	v_fma_f32 v5, v19, v64, -v5
	ds_write2_b64 v172, v[0:1], v[4:5] offset0:68 offset1:102
	s_waitcnt vmcnt(22)
	v_mul_f32_e32 v0, v21, v71
	v_mul_f32_e32 v1, v20, v71
	s_waitcnt vmcnt(20)
	v_mul_f32_e32 v4, v9, v69
	v_mul_f32_e32 v5, v8, v69
	v_fmac_f32_e32 v0, v20, v70
	v_fma_f32 v1, v21, v70, -v1
	v_fmac_f32_e32 v4, v8, v68
	v_fma_f32 v5, v9, v68, -v5
	ds_write2_b64 v172, v[0:1], v[4:5] offset0:136 offset1:170
	;; [unrolled: 11-line block ×7, first 2 shown]
	s_waitcnt vmcnt(0)
	v_mul_f32_e32 v0, v3, v41
	v_mul_f32_e32 v1, v2, v41
	v_accvgpr_write_b32 a18, v58
	v_fmac_f32_e32 v0, v2, v40
	v_fma_f32 v1, v3, v40, -v1
	v_accvgpr_write_b32 a19, v59
	ds_write_b64 v172, v[0:1] offset:4352
	s_waitcnt lgkmcnt(0)
	s_barrier
	ds_read2_b64 v[4:7], v172 offset0:204 offset1:238
	ds_read2_b64 v[8:11], v173 offset0:84 offset1:118
	;; [unrolled: 1-line block ×5, first 2 shown]
	ds_read_b64 v[32:33], v172 offset:4352
	ds_read2_b64 v[56:59], v172 offset1:34
	ds_read2_b64 v[24:27], v172 offset0:68 offset1:102
	ds_read2_b64 v[28:31], v172 offset0:136 offset1:170
	v_accvgpr_write_b32 a22, v62
	v_accvgpr_write_b32 a23, v63
	s_waitcnt lgkmcnt(2)
	v_pk_add_f32 v[36:37], v[56:57], v[58:59]
	v_pk_add_f32 v[62:63], v[10:11], v[4:5]
	s_waitcnt lgkmcnt(1)
	v_pk_add_f32 v[36:37], v[36:37], v[24:25]
	v_pk_add_f32 v[0:1], v[4:5], v[10:11] neg_lo:[0,1] neg_hi:[0,1]
	v_pk_add_f32 v[36:37], v[36:37], v[26:27]
	v_accvgpr_write_b32 a20, v60
	s_waitcnt lgkmcnt(0)
	v_pk_add_f32 v[36:37], v[36:37], v[28:29]
	v_accvgpr_write_b32 a8, v48
	v_pk_add_f32 v[36:37], v[36:37], v[30:31]
	v_accvgpr_write_b32 a21, v61
	;; [unrolled: 2-line block ×3, first 2 shown]
	v_pk_add_f32 v[4:5], v[4:5], v[6:7]
	v_pk_add_f32 v[60:61], v[8:9], v[6:7]
	;; [unrolled: 1-line block ×3, first 2 shown]
	v_pk_add_f32 v[48:49], v[6:7], v[8:9] neg_lo:[0,1] neg_hi:[0,1]
	v_pk_add_f32 v[2:3], v[2:3], v[14:15]
	v_pk_add_f32 v[34:35], v[32:33], v[58:59]
	;; [unrolled: 1-line block ×3, first 2 shown]
	v_pk_add_f32 v[6:7], v[58:59], v[32:33] neg_lo:[0,1] neg_hi:[0,1]
	v_pk_add_f32 v[2:3], v[2:3], v[10:11]
	v_accvgpr_write_b32 a6, v46
	v_pk_add_f32 v[2:3], v[2:3], v[16:17]
	v_accvgpr_write_b32 a10, v50
	;; [unrolled: 2-line block ×3, first 2 shown]
	v_pk_add_f32 v[2:3], v[2:3], v[20:21]
	v_mov_b32_e32 v133, v35
	v_pk_add_f32 v[2:3], v[2:3], v[22:23]
	v_mov_b32_e32 v35, v6
	v_accvgpr_write_b32 a7, v47
	v_accvgpr_write_b32 a11, v51
	;; [unrolled: 1-line block ×3, first 2 shown]
	v_pk_add_f32 v[110:111], v[14:15], v[12:13]
	v_pk_add_f32 v[46:47], v[12:13], v[14:15] neg_lo:[0,1] neg_hi:[0,1]
	v_pk_add_f32 v[40:41], v[22:23], v[24:25]
	v_pk_add_f32 v[12:13], v[24:25], v[22:23] neg_lo:[0,1] neg_hi:[0,1]
	v_pk_add_f32 v[50:51], v[2:3], v[32:33]
	v_pk_mul_f32 v[2:3], v[34:35], s[66:67]
	v_mov_b32_e32 v132, v7
	v_accvgpr_write_b32 a37, v3
	v_mov_b32_e32 v135, v41
	v_mov_b32_e32 v41, v12
	v_pk_add_f32 v[130:131], v[20:21], v[26:27]
	v_pk_add_f32 v[24:25], v[26:27], v[20:21] neg_lo:[0,1] neg_hi:[0,1]
	v_pk_fma_f32 v[8:9], v[132:133], s[16:17], v[2:3] neg_lo:[1,0,0] neg_hi:[1,0,0]
	v_pk_fma_f32 v[128:129], v[132:133], s[16:17], v[2:3]
	v_accvgpr_write_b32 a36, v2
	v_pk_mul_f32 v[2:3], v[40:41], s[60:61]
	v_pk_add_f32 v[126:127], v[18:19], v[28:29]
	v_pk_add_f32 v[26:27], v[28:29], v[18:19] neg_lo:[0,1] neg_hi:[0,1]
	v_mov_b32_e32 v134, v13
	v_accvgpr_write_b32 a39, v3
	v_mov_b32_e32 v19, v131
	v_mov_b32_e32 v131, v24
	s_mov_b32 s56, s19
	s_mov_b32 s57, s18
	v_pk_add_f32 v[124:125], v[16:17], v[30:31]
	v_pk_add_f32 v[28:29], v[30:31], v[16:17] neg_lo:[0,1] neg_hi:[0,1]
	v_mov_b32_e32 v9, v129
	v_pk_fma_f32 v[16:17], v[134:135], s[12:13], v[2:3] neg_lo:[1,0,0] neg_hi:[1,0,0]
	v_pk_fma_f32 v[122:123], v[134:135], s[12:13], v[2:3]
	v_accvgpr_write_b32 a38, v2
	v_mov_b32_e32 v18, v25
	v_pk_mul_f32 v[2:3], v[130:131], s[56:57]
	v_pk_add_f32 v[14:15], v[56:57], v[8:9]
	v_mov_b32_e32 v17, v123
	v_pk_fma_f32 v[22:23], v[18:19], s[18:19], v[2:3] neg_lo:[1,0,0] neg_hi:[1,0,0]
	v_pk_fma_f32 v[118:119], v[18:19], s[18:19], v[2:3]
	s_mov_b32 s14, 0xbf7ee86f
	v_pk_add_f32 v[20:21], v[16:17], v[14:15]
	v_mov_b32_e32 v23, v119
	s_mov_b32 s15, 0x3dbcf732
	v_accvgpr_write_b32 a41, v3
	v_pk_add_f32 v[30:31], v[22:23], v[20:21]
	v_mov_b32_e32 v21, v127
	v_mov_b32_e32 v127, v26
	s_mov_b32 s52, s15
	s_mov_b32 s53, s14
	v_accvgpr_write_b32 a40, v2
	v_mov_b32_e32 v20, v27
	v_pk_mul_f32 v[2:3], v[126:127], s[52:53]
	s_mov_b32 s22, 0xbf763a35
	v_pk_fma_f32 v[26:27], v[20:21], s[14:15], v[2:3] neg_lo:[1,0,0] neg_hi:[1,0,0]
	v_pk_fma_f32 v[114:115], v[20:21], s[14:15], v[2:3]
	s_mov_b32 s23, 0xbe8c1d8e
	v_mov_b32_e32 v27, v115
	v_accvgpr_write_b32 a43, v3
	v_pk_add_f32 v[32:33], v[26:27], v[30:31]
	v_mov_b32_e32 v27, v125
	v_mov_b32_e32 v125, v28
	s_mov_b32 s46, s23
	s_mov_b32 s47, s22
	v_accvgpr_write_b32 a42, v2
	v_mov_b32_e32 v26, v29
	v_pk_mul_f32 v[2:3], v[124:125], s[46:47]
	s_mov_b32 s20, 0xbf4c4adb
	v_pk_fma_f32 v[36:37], v[26:27], s[22:23], v[2:3] neg_lo:[1,0,0] neg_hi:[1,0,0]
	v_pk_fma_f32 v[58:59], v[26:27], s[22:23], v[2:3]
	s_mov_b32 s21, 0xbf1a4643
	v_mov_b32_e32 v37, v59
	v_pk_add_f32 v[38:39], v[36:37], v[32:33]
	v_mov_b32_e32 v33, v63
	v_mov_b32_e32 v63, v0
	s_mov_b32 s42, s21
	s_mov_b32 s43, s20
	v_accvgpr_write_b32 a2, v42
	v_mov_b32_e32 v32, v1
	v_pk_mul_f32 v[0:1], v[62:63], s[42:43]
	v_accvgpr_write_b32 a3, v43
	v_pk_fma_f32 v[42:43], v[32:33], s[20:21], v[0:1] neg_lo:[1,0,0] neg_hi:[1,0,0]
	v_pk_fma_f32 v[30:31], v[32:33], s[20:21], v[0:1]
	s_mov_b32 s26, 0xbf06c442
	v_accvgpr_write_b32 a4, v44
	v_mov_b32_e32 v43, v31
	s_mov_b32 s27, 0xbf59a7d5
	v_accvgpr_write_b32 a5, v45
	v_accvgpr_write_b32 a47, v1
	v_pk_add_f32 v[44:45], v[42:43], v[38:39]
	v_mov_b32_e32 v39, v61
	v_mov_b32_e32 v61, v48
	s_mov_b32 s38, s27
	s_mov_b32 s39, s26
	v_accvgpr_write_b32 a46, v0
	v_mov_b32_e32 v38, v49
	v_pk_mul_f32 v[0:1], v[60:61], s[38:39]
	s_mov_b32 s24, 0xbe3c28d5
	v_pk_fma_f32 v[48:49], v[38:39], s[26:27], v[0:1] neg_lo:[1,0,0] neg_hi:[1,0,0]
	v_pk_fma_f32 v[28:29], v[38:39], s[26:27], v[0:1]
	v_accvgpr_write_b32 a12, v52
	v_mov_b32_e32 v49, v29
	s_mov_b32 s25, 0xbf7ba420
	v_accvgpr_write_b32 a13, v53
	v_accvgpr_write_b32 a49, v1
	v_pk_add_f32 v[52:53], v[48:49], v[44:45]
	v_mov_b32_e32 v45, v111
	v_mov_b32_e32 v111, v46
	s_mov_b32 s30, s25
	s_mov_b32 s31, s24
	v_accvgpr_write_b32 a48, v0
	v_pk_mul_f32 v[0:1], v[110:111], s[30:31]
	v_accvgpr_write_b32 a14, v54
	v_mov_b32_e32 v44, v47
	v_accvgpr_write_b32 a51, v1
	v_accvgpr_write_b32 a15, v55
	v_pk_fma_f32 v[54:55], v[44:45], s[24:25], v[0:1] neg_lo:[1,0,0] neg_hi:[1,0,0]
	v_pk_fma_f32 v[46:47], v[44:45], s[24:25], v[0:1]
	v_accvgpr_write_b32 a50, v0
	v_accvgpr_read_b32 v1, a104             ;  Reload Reuse
	v_accvgpr_read_b32 v0, a106             ;  Reload Reuse
	v_mul_lo_u16_e32 v0, 17, v0
	v_mov_b32_e32 v55, v47
	v_lshl_add_u32 v24, v0, 3, v76
	v_pk_mul_f32 v[0:1], v[34:35], s[60:61]
	v_accvgpr_write_b32 a24, v64
	v_pk_add_f32 v[52:53], v[54:55], v[52:53]
	v_accvgpr_write_b32 a53, v1
	v_accvgpr_write_b32 a26, v66
	;; [unrolled: 1-line block ×3, first 2 shown]
	s_barrier
	ds_write2_b64 v24, v[50:51], v[52:53] offset1:1
	v_pk_fma_f32 v[64:65], v[132:133], s[12:13], v[0:1] neg_lo:[1,0,0] neg_hi:[1,0,0]
	v_pk_fma_f32 v[50:51], v[132:133], s[12:13], v[0:1]
	v_accvgpr_write_b32 a52, v0
	v_pk_mul_f32 v[0:1], v[40:41], s[52:53]
	v_accvgpr_write_b32 a27, v67
	v_mov_b32_e32 v65, v51
	v_pk_fma_f32 v[66:67], v[134:135], s[14:15], v[0:1] neg_lo:[1,0,0] neg_hi:[1,0,0]
	v_pk_fma_f32 v[52:53], v[134:135], s[14:15], v[0:1]
	v_accvgpr_write_b32 a55, v1
	v_accvgpr_write_b32 a54, v0
	v_mov_b32_e32 v67, v53
	v_pk_add_f32 v[64:65], v[56:57], v[64:65]
	v_pk_mul_f32 v[0:1], v[130:131], s[42:43]
	v_pk_add_f32 v[64:65], v[66:67], v[64:65]
	v_pk_fma_f32 v[66:67], v[18:19], s[20:21], v[0:1] neg_lo:[1,0,0] neg_hi:[1,0,0]
	v_pk_fma_f32 v[102:103], v[18:19], s[20:21], v[0:1]
	v_accvgpr_write_b32 a57, v1
	v_accvgpr_write_b32 a56, v0
	v_mov_b32_e32 v67, v103
	v_pk_mul_f32 v[0:1], v[126:127], s[30:31]
	s_mov_b32 s28, 0x3f06c442
	v_pk_add_f32 v[64:65], v[66:67], v[64:65]
	v_pk_fma_f32 v[66:67], v[20:21], s[24:25], v[0:1] neg_lo:[1,0,0] neg_hi:[1,0,0]
	v_pk_fma_f32 v[104:105], v[20:21], s[24:25], v[0:1]
	v_accvgpr_write_b32 a59, v1
	s_mov_b32 s58, s27
	s_mov_b32 s59, s28
	v_accvgpr_write_b32 a58, v0
	v_mov_b32_e32 v67, v105
	s_mov_b32 s29, s27
	v_pk_mul_f32 v[0:1], v[124:125], s[58:59]
	s_mov_b32 s34, 0x3f763a35
	v_pk_add_f32 v[64:65], v[66:67], v[64:65]
	v_pk_fma_f32 v[66:67], v[26:27], s[28:29], v[0:1] neg_lo:[1,0,0] neg_hi:[1,0,0]
	v_pk_fma_f32 v[106:107], v[26:27], s[28:29], v[0:1]
	s_mov_b32 s54, s23
	s_mov_b32 s55, s34
	v_mov_b32_e32 v67, v107
	s_mov_b32 s35, s23
	v_pk_mul_f32 v[54:55], v[62:63], s[54:55]
	s_mov_b32 s36, 0x3f65296c
	v_pk_add_f32 v[64:65], v[66:67], v[64:65]
	v_pk_fma_f32 v[66:67], v[32:33], s[34:35], v[54:55] neg_lo:[1,0,0] neg_hi:[1,0,0]
	v_pk_fma_f32 v[112:113], v[32:33], s[34:35], v[54:55]
	s_mov_b32 s48, s19
	s_mov_b32 s49, s36
	;; [unrolled: 9-line block ×3, first 2 shown]
	v_mov_b32_e32 v67, v117
	s_mov_b32 s41, s17
	v_pk_mul_f32 v[42:43], v[110:111], s[44:45]
	v_pk_add_f32 v[64:65], v[66:67], v[64:65]
	v_pk_fma_f32 v[66:67], v[44:45], s[40:41], v[42:43] neg_lo:[1,0,0] neg_hi:[1,0,0]
	v_pk_fma_f32 v[120:121], v[44:45], s[40:41], v[42:43]
	v_pk_mul_f32 v[140:141], v[34:35], s[56:57]
	v_mov_b32_e32 v67, v121
	v_accvgpr_write_b32 a28, v68
	v_pk_add_f32 v[64:65], v[66:67], v[64:65]
	v_pk_fma_f32 v[66:67], v[132:133], s[18:19], v[140:141] neg_lo:[1,0,0] neg_hi:[1,0,0]
	v_pk_fma_f32 v[136:137], v[132:133], s[18:19], v[140:141]
	v_pk_mul_f32 v[142:143], v[40:41], s[42:43]
	s_mov_b32 s68, 0x3e3c28d5
	v_accvgpr_write_b32 a29, v69
	v_mov_b32_e32 v67, v137
	v_pk_fma_f32 v[68:69], v[134:135], s[20:21], v[142:143] neg_lo:[1,0,0] neg_hi:[1,0,0]
	v_pk_fma_f32 v[138:139], v[134:135], s[20:21], v[142:143]
	s_mov_b32 s2, s25
	s_mov_b32 s3, s68
	v_mov_b32_e32 v69, v139
	v_pk_add_f32 v[66:67], v[56:57], v[66:67]
	s_mov_b32 s69, s25
	v_pk_mul_f32 v[152:153], v[130:131], s[2:3]
	v_pk_add_f32 v[66:67], v[68:69], v[66:67]
	v_pk_fma_f32 v[68:69], v[18:19], s[68:69], v[152:153] neg_lo:[1,0,0] neg_hi:[1,0,0]
	v_pk_fma_f32 v[144:145], v[18:19], s[68:69], v[152:153]
	v_pk_mul_f32 v[154:155], v[126:127], s[54:55]
	v_mov_b32_e32 v69, v145
	s_mov_b32 s50, 0x3f2c7751
	v_pk_add_f32 v[66:67], v[68:69], v[66:67]
	v_pk_fma_f32 v[68:69], v[20:21], s[34:35], v[154:155] neg_lo:[1,0,0] neg_hi:[1,0,0]
	v_pk_fma_f32 v[146:147], v[20:21], s[34:35], v[154:155]
	s_mov_b32 s2, s13
	s_mov_b32 s3, s50
	v_mov_b32_e32 v69, v147
	s_mov_b32 s51, s13
	v_pk_mul_f32 v[160:161], v[124:125], s[2:3]
	v_pk_add_f32 v[66:67], v[68:69], v[66:67]
	v_pk_fma_f32 v[68:69], v[26:27], s[50:51], v[160:161] neg_lo:[1,0,0] neg_hi:[1,0,0]
	v_pk_fma_f32 v[148:149], v[26:27], s[50:51], v[160:161]
	v_pk_mul_f32 v[162:163], v[62:63], s[66:67]
	v_mov_b32_e32 v69, v149
	v_pk_add_f32 v[66:67], v[68:69], v[66:67]
	v_pk_fma_f32 v[68:69], v[32:33], s[16:17], v[162:163] neg_lo:[1,0,0] neg_hi:[1,0,0]
	v_pk_fma_f32 v[150:151], v[32:33], s[16:17], v[162:163]
	v_pk_mul_f32 v[164:165], v[60:61], s[52:53]
	v_mov_b32_e32 v69, v151
	;; [unrolled: 5-line block ×4, first 2 shown]
	v_pk_add_f32 v[66:67], v[68:69], v[66:67]
	ds_write2_b64 v24, v[64:65], v[66:67] offset0:2 offset1:3
	v_pk_fma_f32 v[64:65], v[132:133], s[14:15], v[36:37] neg_lo:[1,0,0] neg_hi:[1,0,0]
	v_pk_fma_f32 v[168:169], v[132:133], s[14:15], v[36:37]
	v_pk_mul_f32 v[174:175], v[40:41], s[30:31]
	v_mov_b32_e32 v65, v169
	v_pk_fma_f32 v[66:67], v[134:135], s[24:25], v[174:175] neg_lo:[1,0,0] neg_hi:[1,0,0]
	v_pk_fma_f32 v[170:171], v[134:135], s[24:25], v[174:175]
	v_pk_add_f32 v[64:65], v[56:57], v[64:65]
	v_mov_b32_e32 v67, v171
	v_pk_mul_f32 v[184:185], v[130:131], s[54:55]
	v_pk_add_f32 v[64:65], v[66:67], v[64:65]
	v_pk_fma_f32 v[66:67], v[18:19], s[34:35], v[184:185] neg_lo:[1,0,0] neg_hi:[1,0,0]
	v_pk_fma_f32 v[176:177], v[18:19], s[34:35], v[184:185]
	v_pk_mul_f32 v[186:187], v[126:127], s[44:45]
	v_mov_b32_e32 v67, v177
	v_pk_add_f32 v[64:65], v[66:67], v[64:65]
	v_pk_fma_f32 v[66:67], v[20:21], s[40:41], v[186:187] neg_lo:[1,0,0] neg_hi:[1,0,0]
	v_pk_fma_f32 v[178:179], v[20:21], s[40:41], v[186:187]
	v_pk_mul_f32 v[190:191], v[124:125], s[56:57]
	v_mov_b32_e32 v67, v179
	;; [unrolled: 5-line block ×3, first 2 shown]
	s_mov_b32 s62, 0x3f4c4adb
	v_pk_add_f32 v[64:65], v[66:67], v[64:65]
	v_pk_fma_f32 v[66:67], v[32:33], s[26:27], v[192:193] neg_lo:[1,0,0] neg_hi:[1,0,0]
	v_pk_fma_f32 v[182:183], v[32:33], s[26:27], v[192:193]
	s_mov_b32 s72, s21
	s_mov_b32 s73, s62
	v_mov_b32_e32 v67, v183
	s_mov_b32 s63, s21
	v_pk_mul_f32 v[196:197], v[60:61], s[72:73]
	v_pk_add_f32 v[64:65], v[66:67], v[64:65]
	v_pk_fma_f32 v[66:67], v[38:39], s[62:63], v[196:197] neg_lo:[1,0,0] neg_hi:[1,0,0]
	v_pk_fma_f32 v[188:189], v[38:39], s[62:63], v[196:197]
	v_pk_mul_f32 v[198:199], v[110:111], s[2:3]
	v_mov_b32_e32 v67, v189
	v_pk_add_f32 v[64:65], v[66:67], v[64:65]
	v_pk_fma_f32 v[66:67], v[44:45], s[50:51], v[198:199] neg_lo:[1,0,0] neg_hi:[1,0,0]
	v_pk_fma_f32 v[194:195], v[44:45], s[50:51], v[198:199]
	v_accvgpr_write_b32 a30, v70
	v_mov_b32_e32 v67, v195
	v_pk_mul_f32 v[204:205], v[34:35], s[46:47]
	v_accvgpr_write_b32 a31, v71
	v_pk_add_f32 v[70:71], v[66:67], v[64:65]
	v_pk_fma_f32 v[64:65], v[132:133], s[22:23], v[204:205] neg_lo:[1,0,0] neg_hi:[1,0,0]
	v_pk_fma_f32 v[200:201], v[132:133], s[22:23], v[204:205]
	v_pk_mul_f32 v[206:207], v[40:41], s[58:59]
	v_mov_b32_e32 v65, v201
	v_pk_fma_f32 v[66:67], v[134:135], s[28:29], v[206:207] neg_lo:[1,0,0] neg_hi:[1,0,0]
	v_pk_fma_f32 v[202:203], v[134:135], s[28:29], v[206:207]
	v_pk_add_f32 v[64:65], v[56:57], v[64:65]
	v_mov_b32_e32 v67, v203
	v_pk_mul_f32 v[216:217], v[130:131], s[2:3]
	v_pk_add_f32 v[64:65], v[66:67], v[64:65]
	v_pk_fma_f32 v[66:67], v[18:19], s[50:51], v[216:217] neg_lo:[1,0,0] neg_hi:[1,0,0]
	v_pk_fma_f32 v[208:209], v[18:19], s[50:51], v[216:217]
	v_pk_mul_f32 v[218:219], v[126:127], s[56:57]
	v_mov_b32_e32 v67, v209
	v_pk_add_f32 v[64:65], v[66:67], v[64:65]
	v_pk_fma_f32 v[66:67], v[20:21], s[18:19], v[218:219] neg_lo:[1,0,0] neg_hi:[1,0,0]
	v_pk_fma_f32 v[210:211], v[20:21], s[18:19], v[218:219]
	v_pk_mul_f32 v[222:223], v[124:125], s[30:31]
	v_mov_b32_e32 v67, v211
	v_pk_add_f32 v[64:65], v[66:67], v[64:65]
	v_pk_fma_f32 v[66:67], v[26:27], s[24:25], v[222:223] neg_lo:[1,0,0] neg_hi:[1,0,0]
	v_pk_fma_f32 v[212:213], v[26:27], s[24:25], v[222:223]
	s_mov_b32 s64, 0x3f7ee86f
	v_mov_b32_e32 v67, v213
	s_mov_b32 s70, s15
	s_mov_b32 s71, s64
	v_pk_add_f32 v[66:67], v[66:67], v[64:65]
	s_mov_b32 s65, s15
	v_pk_mul_f32 v[64:65], v[62:63], s[70:71]
	v_accvgpr_write_b32 a32, v72
	v_pk_fma_f32 v[68:69], v[32:33], s[64:65], v[64:65] neg_lo:[1,0,0] neg_hi:[1,0,0]
	v_pk_fma_f32 v[214:215], v[32:33], s[64:65], v[64:65]
	v_accvgpr_write_b32 a33, v73
	v_mov_b32_e32 v69, v215
	v_pk_add_f32 v[68:69], v[68:69], v[66:67]
	v_pk_mul_f32 v[66:67], v[60:61], s[66:67]
	v_accvgpr_write_b32 a34, v74
	v_pk_fma_f32 v[72:73], v[38:39], s[16:17], v[66:67] neg_lo:[1,0,0] neg_hi:[1,0,0]
	v_pk_fma_f32 v[220:221], v[38:39], s[16:17], v[66:67]
	v_accvgpr_write_b32 a35, v75
	v_mov_b32_e32 v73, v221
	v_pk_add_f32 v[72:73], v[72:73], v[68:69]
	v_pk_mul_f32 v[68:69], v[110:111], s[42:43]
	v_mov_b32_e32 v25, v76
	v_pk_fma_f32 v[74:75], v[44:45], s[20:21], v[68:69] neg_lo:[1,0,0] neg_hi:[1,0,0]
	v_pk_fma_f32 v[224:225], v[44:45], s[20:21], v[68:69]
	v_pk_mul_f32 v[76:77], v[34:35], s[42:43]
	v_mov_b32_e32 v75, v225
	v_pk_add_f32 v[72:73], v[74:75], v[72:73]
	ds_write2_b64 v24, v[70:71], v[72:73] offset0:4 offset1:5
	v_pk_fma_f32 v[72:73], v[132:133], s[20:21], v[76:77] neg_lo:[1,0,0] neg_hi:[1,0,0]
	v_pk_fma_f32 v[70:71], v[132:133], s[20:21], v[76:77]
	v_pk_mul_f32 v[78:79], v[40:41], s[54:55]
	v_mov_b32_e32 v73, v71
	v_pk_fma_f32 v[80:81], v[134:135], s[34:35], v[78:79] neg_lo:[1,0,0] neg_hi:[1,0,0]
	v_pk_fma_f32 v[74:75], v[134:135], s[34:35], v[78:79]
	v_pk_add_f32 v[72:73], v[56:57], v[72:73]
	v_mov_b32_e32 v81, v75
	v_pk_mul_f32 v[90:91], v[130:131], s[66:67]
	v_pk_add_f32 v[80:81], v[80:81], v[72:73]
	v_pk_fma_f32 v[84:85], v[18:19], s[16:17], v[90:91] neg_lo:[1,0,0] neg_hi:[1,0,0]
	v_pk_fma_f32 v[72:73], v[18:19], s[16:17], v[90:91]
	v_pk_mul_f32 v[92:93], v[126:127], s[38:39]
	v_mov_b32_e32 v85, v73
	v_pk_add_f32 v[84:85], v[84:85], v[80:81]
	v_pk_fma_f32 v[86:87], v[20:21], s[26:27], v[92:93] neg_lo:[1,0,0] neg_hi:[1,0,0]
	v_pk_fma_f32 v[80:81], v[20:21], s[26:27], v[92:93]
	v_pk_mul_f32 v[96:97], v[124:125], s[70:71]
	v_mov_b32_e32 v87, v81
	;; [unrolled: 5-line block ×6, first 2 shown]
	v_pk_add_f32 v[228:229], v[232:233], v[228:229]
	v_pk_mul_f32 v[232:233], v[34:35], s[38:39]
	v_pk_fma_f32 v[240:241], v[134:135], s[36:37], v[238:239] neg_lo:[1,0,0] neg_hi:[1,0,0]
	v_pk_fma_f32 v[234:235], v[132:133], s[26:27], v[232:233] neg_lo:[1,0,0] neg_hi:[1,0,0]
	v_pk_fma_f32 v[236:237], v[132:133], s[26:27], v[232:233]
	v_pk_fma_f32 v[242:243], v[134:135], s[36:37], v[238:239]
	v_mov_b32_e32 v235, v237
	v_mov_b32_e32 v241, v243
	v_pk_add_f32 v[234:235], v[56:57], v[234:235]
	v_accvgpr_write_b32 a61, v1
	v_pk_add_f32 v[234:235], v[240:241], v[234:235]
	v_pk_mul_f32 v[240:241], v[130:131], s[52:53]
	v_accvgpr_write_b32 a60, v0
	v_pk_fma_f32 v[244:245], v[18:19], s[14:15], v[240:241] neg_lo:[1,0,0] neg_hi:[1,0,0]
	v_pk_fma_f32 v[246:247], v[18:19], s[14:15], v[240:241]
	v_pk_mul_f32 v[22:23], v[34:35], s[30:31]
	v_mov_b32_e32 v245, v247
	v_pk_add_f32 v[234:235], v[244:245], v[234:235]
	v_pk_mul_f32 v[244:245], v[126:127], s[72:73]
	v_pk_fma_f32 v[34:35], v[132:133], s[24:25], v[22:23] neg_lo:[1,0,0] neg_hi:[1,0,0]
	v_pk_fma_f32 v[248:249], v[20:21], s[62:63], v[244:245] neg_lo:[1,0,0] neg_hi:[1,0,0]
	v_pk_fma_f32 v[250:251], v[20:21], s[62:63], v[244:245]
	v_pk_mul_f32 v[40:41], v[40:41], s[44:45]
	v_mov_b32_e32 v249, v251
	v_pk_add_f32 v[234:235], v[248:249], v[234:235]
	v_pk_mul_f32 v[248:249], v[124:125], s[66:67]
	v_pk_fma_f32 v[12:13], v[134:135], s[40:41], v[40:41]
	v_pk_fma_f32 v[252:253], v[26:27], s[16:17], v[248:249] neg_lo:[1,0,0] neg_hi:[1,0,0]
	v_pk_fma_f32 v[254:255], v[26:27], s[16:17], v[248:249]
	v_pk_mul_f32 v[130:131], v[130:131], s[38:39]
	v_mov_b32_e32 v253, v255
	v_pk_add_f32 v[234:235], v[252:253], v[234:235]
	v_pk_mul_f32 v[252:253], v[62:63], s[30:31]
	v_pk_fma_f32 v[10:11], v[18:19], s[26:27], v[130:131]
	;; [unrolled: 7-line block ×4, first 2 shown]
	v_pk_fma_f32 v[0:1], v[44:45], s[22:23], v[108:109] neg_lo:[1,0,0] neg_hi:[1,0,0]
	v_pk_fma_f32 v[14:15], v[44:45], s[22:23], v[108:109]
	v_pk_mul_f32 v[62:63], v[62:63], s[48:49]
	v_mov_b32_e32 v1, v15
	v_pk_add_f32 v[0:1], v[0:1], v[82:83]
	v_pk_fma_f32 v[82:83], v[132:133], s[24:25], v[22:23]
	ds_write2_b64 v24, v[228:229], v[0:1] offset0:6 offset1:7
	v_mov_b32_e32 v35, v83
	v_pk_fma_f32 v[228:229], v[134:135], s[40:41], v[40:41] neg_lo:[1,0,0] neg_hi:[1,0,0]
	v_pk_add_f32 v[34:35], v[56:57], v[34:35]
	v_mov_b32_e32 v229, v13
	v_pk_add_f32 v[34:35], v[228:229], v[34:35]
	v_pk_fma_f32 v[228:229], v[18:19], s[26:27], v[130:131] neg_lo:[1,0,0] neg_hi:[1,0,0]
	v_pk_fma_f32 v[22:23], v[132:133], s[24:25], v[22:23] neg_lo:[0,0,1] neg_hi:[0,0,1]
	v_mov_b32_e32 v229, v11
	v_pk_add_f32 v[34:35], v[228:229], v[34:35]
	v_pk_fma_f32 v[228:229], v[20:21], s[50:51], v[126:127] neg_lo:[1,0,0] neg_hi:[1,0,0]
	v_mov_b32_e32 v83, v23
	v_mov_b32_e32 v229, v9
	v_pk_add_f32 v[34:35], v[228:229], v[34:35]
	v_pk_fma_f32 v[228:229], v[26:27], s[20:21], v[124:125] neg_lo:[1,0,0] neg_hi:[1,0,0]
	v_pk_fma_f32 v[22:23], v[134:135], s[40:41], v[40:41] neg_lo:[0,0,1] neg_hi:[0,0,1]
	v_mov_b32_e32 v229, v7
	v_mov_b32_e32 v13, v23
	v_pk_fma_f32 v[22:23], v[18:19], s[26:27], v[130:131] neg_lo:[0,0,1] neg_hi:[0,0,1]
	v_pk_add_f32 v[34:35], v[228:229], v[34:35]
	v_pk_fma_f32 v[228:229], v[32:33], s[36:37], v[62:63] neg_lo:[1,0,0] neg_hi:[1,0,0]
	v_pk_fma_f32 v[4:5], v[32:33], s[36:37], v[62:63]
	v_mov_b32_e32 v11, v23
	v_pk_fma_f32 v[22:23], v[20:21], s[50:51], v[126:127] neg_lo:[0,0,1] neg_hi:[0,0,1]
	v_accvgpr_write_b32 a45, v3
	v_mov_b32_e32 v229, v5
	v_pk_mul_f32 v[60:61], v[60:61], s[46:47]
	v_mov_b32_e32 v9, v23
	v_pk_fma_f32 v[22:23], v[26:27], s[20:21], v[124:125] neg_lo:[0,0,1] neg_hi:[0,0,1]
	v_accvgpr_write_b32 a44, v2
	v_pk_add_f32 v[34:35], v[228:229], v[34:35]
	v_pk_fma_f32 v[228:229], v[38:39], s[22:23], v[60:61] neg_lo:[1,0,0] neg_hi:[1,0,0]
	v_pk_fma_f32 v[2:3], v[38:39], s[22:23], v[60:61]
	v_mov_b32_e32 v7, v23
	v_pk_fma_f32 v[22:23], v[32:33], s[36:37], v[62:63] neg_lo:[0,0,1] neg_hi:[0,0,1]
	v_mov_b32_e32 v229, v3
	v_pk_mul_f32 v[110:111], v[110:111], s[70:71]
	v_mov_b32_e32 v5, v23
	v_pk_fma_f32 v[22:23], v[38:39], s[22:23], v[60:61] neg_lo:[0,0,1] neg_hi:[0,0,1]
	v_pk_add_f32 v[34:35], v[228:229], v[34:35]
	v_pk_fma_f32 v[228:229], v[44:45], s[64:65], v[110:111] neg_lo:[1,0,0] neg_hi:[1,0,0]
	v_pk_fma_f32 v[0:1], v[44:45], s[64:65], v[110:111]
	v_mov_b32_e32 v3, v23
	v_pk_fma_f32 v[22:23], v[44:45], s[64:65], v[110:111] neg_lo:[0,0,1] neg_hi:[0,0,1]
	v_mov_b32_e32 v229, v1
	v_mov_b32_e32 v1, v23
	v_pk_add_f32 v[22:23], v[56:57], v[82:83]
	v_pk_add_f32 v[34:35], v[228:229], v[34:35]
	;; [unrolled: 1-line block ×3, first 2 shown]
	s_movk_i32 s2, 0xffef
	v_pk_add_f32 v[10:11], v[10:11], v[12:13]
	s_mov_b32 s3, -1
	v_pk_add_f32 v[8:9], v[8:9], v[10:11]
	v_mov_b32_e32 v13, v25
	v_pk_add_f32 v[6:7], v[6:7], v[8:9]
	v_accvgpr_write_b32 a17, v24
	v_pk_add_f32 v[4:5], v[4:5], v[6:7]
	s_mov_b32 s70, s19
	v_pk_add_f32 v[2:3], v[2:3], v[4:5]
	s_mov_b32 s74, s23
	v_pk_add_f32 v[0:1], v[0:1], v[2:3]
	ds_write2_b64 v24, v[34:35], v[0:1] offset0:8 offset1:9
	v_pk_fma_f32 v[0:1], v[132:133], s[26:27], v[232:233] neg_lo:[0,0,1] neg_hi:[0,0,1]
	v_pk_fma_f32 v[2:3], v[132:133], s[20:21], v[76:77] neg_lo:[0,0,1] neg_hi:[0,0,1]
	v_mov_b32_e32 v237, v1
	v_pk_fma_f32 v[0:1], v[134:135], s[36:37], v[238:239] neg_lo:[0,0,1] neg_hi:[0,0,1]
	v_mov_b32_e32 v71, v3
	;; [unrolled: 2-line block ×15, first 2 shown]
	v_pk_add_f32 v[0:1], v[56:57], v[236:237]
	v_mov_b32_e32 v95, v3
	v_pk_add_f32 v[2:3], v[56:57], v[70:71]
	v_pk_add_f32 v[0:1], v[242:243], v[0:1]
	;; [unrolled: 1-line block ×15, first 2 shown]
	ds_write2_b64 v24, v[0:1], v[2:3] offset0:10 offset1:11
	v_pk_fma_f32 v[0:1], v[132:133], s[22:23], v[204:205] neg_lo:[0,0,1] neg_hi:[0,0,1]
	v_pk_fma_f32 v[2:3], v[132:133], s[14:15], v[36:37] neg_lo:[0,0,1] neg_hi:[0,0,1]
	v_mov_b32_e32 v201, v1
	v_pk_fma_f32 v[0:1], v[134:135], s[28:29], v[206:207] neg_lo:[0,0,1] neg_hi:[0,0,1]
	v_mov_b32_e32 v169, v3
	;; [unrolled: 2-line block ×15, first 2 shown]
	v_pk_add_f32 v[0:1], v[56:57], v[200:201]
	v_mov_b32_e32 v195, v3
	v_pk_add_f32 v[2:3], v[56:57], v[168:169]
	v_pk_add_f32 v[0:1], v[202:203], v[0:1]
	;; [unrolled: 1-line block ×15, first 2 shown]
	ds_write2_b64 v24, v[0:1], v[2:3] offset0:12 offset1:13
	v_accvgpr_read_b32 v2, a52
	v_accvgpr_read_b32 v3, a53
	v_pk_fma_f32 v[2:3], v[132:133], s[12:13], v[2:3] neg_lo:[0,0,1] neg_hi:[0,0,1]
	v_pk_fma_f32 v[0:1], v[132:133], s[18:19], v[140:141] neg_lo:[0,0,1] neg_hi:[0,0,1]
	v_mov_b32_e32 v51, v3
	v_accvgpr_read_b32 v2, a54
	v_accvgpr_read_b32 v3, a55
	v_pk_fma_f32 v[2:3], v[134:135], s[14:15], v[2:3] neg_lo:[0,0,1] neg_hi:[0,0,1]
	v_mov_b32_e32 v137, v1
	v_mov_b32_e32 v53, v3
	v_accvgpr_read_b32 v2, a56
	v_accvgpr_read_b32 v3, a57
	v_pk_fma_f32 v[2:3], v[18:19], s[20:21], v[2:3] neg_lo:[0,0,1] neg_hi:[0,0,1]
	v_pk_fma_f32 v[0:1], v[134:135], s[20:21], v[142:143] neg_lo:[0,0,1] neg_hi:[0,0,1]
	v_mov_b32_e32 v103, v3
	v_accvgpr_read_b32 v2, a58
	v_accvgpr_read_b32 v3, a59
	v_pk_fma_f32 v[2:3], v[20:21], s[24:25], v[2:3] neg_lo:[0,0,1] neg_hi:[0,0,1]
	v_mov_b32_e32 v139, v1
	v_pk_fma_f32 v[0:1], v[18:19], s[68:69], v[152:153] neg_lo:[0,0,1] neg_hi:[0,0,1]
	v_mov_b32_e32 v105, v3
	v_accvgpr_read_b32 v2, a60
	v_mov_b32_e32 v145, v1
	v_pk_fma_f32 v[0:1], v[20:21], s[34:35], v[154:155] neg_lo:[0,0,1] neg_hi:[0,0,1]
	v_accvgpr_read_b32 v3, a61
	v_mov_b32_e32 v147, v1
	v_pk_fma_f32 v[0:1], v[26:27], s[50:51], v[160:161] neg_lo:[0,0,1] neg_hi:[0,0,1]
	v_pk_fma_f32 v[2:3], v[26:27], s[28:29], v[2:3] neg_lo:[0,0,1] neg_hi:[0,0,1]
	v_mov_b32_e32 v149, v1
	v_pk_fma_f32 v[0:1], v[32:33], s[16:17], v[162:163] neg_lo:[0,0,1] neg_hi:[0,0,1]
	v_mov_b32_e32 v107, v3
	;; [unrolled: 2-line block ×7, first 2 shown]
	v_pk_add_f32 v[0:1], v[56:57], v[136:137]
	v_mov_b32_e32 v121, v3
	v_pk_add_f32 v[2:3], v[56:57], v[50:51]
	v_pk_add_f32 v[0:1], v[138:139], v[0:1]
	;; [unrolled: 1-line block ×15, first 2 shown]
	ds_write2_b64 v24, v[0:1], v[2:3] offset0:14 offset1:15
	v_accvgpr_read_b32 v2, a38
	v_accvgpr_read_b32 v3, a39
	v_pk_fma_f32 v[2:3], v[134:135], s[12:13], v[2:3] neg_lo:[0,0,1] neg_hi:[0,0,1]
	v_accvgpr_read_b32 v0, a36
	v_mov_b32_e32 v123, v3
	v_accvgpr_read_b32 v2, a40
	v_accvgpr_read_b32 v3, a41
	v_pk_fma_f32 v[2:3], v[18:19], s[18:19], v[2:3] neg_lo:[0,0,1] neg_hi:[0,0,1]
	v_accvgpr_read_b32 v1, a37
	v_mov_b32_e32 v119, v3
	v_accvgpr_read_b32 v2, a42
	v_accvgpr_read_b32 v3, a43
	v_pk_fma_f32 v[2:3], v[20:21], s[14:15], v[2:3] neg_lo:[0,0,1] neg_hi:[0,0,1]
	v_pk_fma_f32 v[0:1], v[132:133], s[16:17], v[0:1] neg_lo:[0,0,1] neg_hi:[0,0,1]
	v_mov_b32_e32 v115, v3
	v_accvgpr_read_b32 v2, a44
	v_accvgpr_read_b32 v3, a45
	v_pk_fma_f32 v[2:3], v[26:27], s[22:23], v[2:3] neg_lo:[0,0,1] neg_hi:[0,0,1]
	v_mov_b32_e32 v129, v1
	v_mov_b32_e32 v59, v3
	v_accvgpr_read_b32 v2, a46
	v_accvgpr_read_b32 v3, a47
	v_pk_fma_f32 v[2:3], v[32:33], s[20:21], v[2:3] neg_lo:[0,0,1] neg_hi:[0,0,1]
	v_pk_add_f32 v[0:1], v[56:57], v[128:129]
	v_mov_b32_e32 v31, v3
	v_accvgpr_read_b32 v2, a48
	v_pk_add_f32 v[0:1], v[122:123], v[0:1]
	v_accvgpr_read_b32 v3, a49
	v_pk_add_f32 v[0:1], v[118:119], v[0:1]
	v_pk_fma_f32 v[2:3], v[38:39], s[26:27], v[2:3] neg_lo:[0,0,1] neg_hi:[0,0,1]
	v_pk_add_f32 v[0:1], v[114:115], v[0:1]
	v_mov_b32_e32 v29, v3
	v_accvgpr_read_b32 v2, a50
	v_pk_add_f32 v[0:1], v[58:59], v[0:1]
	v_accvgpr_read_b32 v3, a51
	v_pk_add_f32 v[0:1], v[30:31], v[0:1]
	v_pk_fma_f32 v[2:3], v[44:45], s[24:25], v[2:3] neg_lo:[0,0,1] neg_hi:[0,0,1]
	v_pk_add_f32 v[0:1], v[28:29], v[0:1]
	v_mov_b32_e32 v47, v3
	v_pk_add_f32 v[0:1], v[46:47], v[0:1]
	ds_write_b64 v24, v[0:1] offset:128
	v_accvgpr_read_b32 v1, a104             ;  Reload Reuse
	v_accvgpr_read_b32 v0, a106             ;  Reload Reuse
	v_lshl_add_u64 v[118:119], v[0:1], 0, s[2:3]
	v_accvgpr_read_b32 v1, a104             ;  Reload Reuse
	v_accvgpr_read_b32 v0, a106             ;  Reload Reuse
	v_cmp_gt_u16_e32 vcc, 17, v0
	v_accvgpr_read_b32 v1, a104             ;  Reload Reuse
	v_accvgpr_read_b32 v0, a106             ;  Reload Reuse
	v_cndmask_b32_e64 v37, v119, 0, vcc
	v_cndmask_b32_e32 v36, v118, v0, vcc
	v_lshlrev_b64 v[0:1], 7, v[36:37]
	v_lshl_add_u64 v[28:29], s[10:11], 0, v[0:1]
	s_waitcnt lgkmcnt(0)
	s_barrier
	global_load_dwordx4 v[0:3], v[28:29], off offset:48
	global_load_dwordx4 v[212:215], v[28:29], off offset:64
	;; [unrolled: 1-line block ×4, first 2 shown]
	global_load_dwordx4 v[230:233], v[28:29], off
	global_load_dwordx4 v[18:21], v[28:29], off offset:16
	global_load_dwordx4 v[24:27], v[28:29], off offset:96
	s_nop 0
	global_load_dwordx4 v[28:31], v[28:29], off offset:112
	ds_read2_b64 v[32:35], v172 offset0:204 offset1:238
	ds_read2_b64 v[38:41], v173 offset0:16 offset1:50
	;; [unrolled: 1-line block ×3, first 2 shown]
	s_mov_b32 s76, s21
	s_mov_b32 s72, s27
	;; [unrolled: 1-line block ×3, first 2 shown]
	s_waitcnt vmcnt(7)
	v_mov_b32_e32 v6, v3
	s_waitcnt vmcnt(6)
	v_mov_b32_e32 v4, v215
	;; [unrolled: 2-line block ×3, first 2 shown]
	s_waitcnt lgkmcnt(2)
	v_pk_mul_f32 v[46:47], v[32:33], v[46:47] op_sel_hi:[1,0]
	v_accvgpr_write_b32 a48, v2
	v_pk_fma_f32 v[48:49], v[32:33], v[16:17], v[46:47] op_sel:[0,0,1] op_sel_hi:[1,1,0] neg_lo:[0,0,1] neg_hi:[0,0,1]
	v_pk_fma_f32 v[46:47], v[32:33], v[16:17], v[46:47] op_sel:[0,0,1] op_sel_hi:[1,0,0]
	v_pk_mul_f32 v[32:33], v[34:35], v[0:1] op_sel:[0,1]
	v_accvgpr_write_b32 a47, v1
	v_pk_fma_f32 v[50:51], v[34:35], v[0:1], v[32:33] op_sel:[0,0,1] op_sel_hi:[1,1,0] neg_lo:[0,0,1] neg_hi:[0,0,1]
	v_pk_fma_f32 v[52:53], v[34:35], v[0:1], v[32:33] op_sel:[0,0,1] op_sel_hi:[1,0,0]
	s_waitcnt lgkmcnt(1)
	v_pk_mul_f32 v[32:33], v[38:39], v[6:7] op_sel_hi:[1,0]
	v_accvgpr_write_b32 a46, v0
	v_pk_fma_f32 v[54:55], v[38:39], v[2:3], v[32:33] op_sel:[0,0,1] op_sel_hi:[1,1,0] neg_lo:[0,0,1] neg_hi:[0,0,1]
	v_pk_fma_f32 v[56:57], v[38:39], v[2:3], v[32:33] op_sel:[0,0,1] op_sel_hi:[1,0,0]
	v_pk_mul_f32 v[32:33], v[40:41], v[212:213] op_sel:[0,1]
	s_waitcnt vmcnt(4) lgkmcnt(0)
	v_pk_mul_f32 v[38:39], v[44:45], v[234:235] op_sel:[0,1]
	v_pk_fma_f32 v[58:59], v[40:41], v[212:213], v[32:33] op_sel:[0,0,1] op_sel_hi:[1,1,0] neg_lo:[0,0,1] neg_hi:[0,0,1]
	v_pk_fma_f32 v[60:61], v[40:41], v[212:213], v[32:33] op_sel:[0,0,1] op_sel_hi:[1,0,0]
	v_pk_mul_f32 v[32:33], v[42:43], v[4:5] op_sel_hi:[1,0]
	v_pk_fma_f32 v[64:65], v[44:45], v[234:235], v[38:39] op_sel:[0,0,1] op_sel_hi:[1,1,0] neg_lo:[0,0,1] neg_hi:[0,0,1]
	v_pk_fma_f32 v[62:63], v[42:43], v[214:215], v[32:33] op_sel:[0,0,1] op_sel_hi:[1,1,0] neg_lo:[0,0,1] neg_hi:[0,0,1]
	v_pk_fma_f32 v[42:43], v[42:43], v[214:215], v[32:33] op_sel:[0,0,1] op_sel_hi:[1,0,0]
	ds_read2_b64 v[32:35], v172 offset0:68 offset1:102
	v_pk_fma_f32 v[44:45], v[44:45], v[234:235], v[38:39] op_sel:[0,0,1] op_sel_hi:[1,0,0]
	ds_read2_b64 v[38:41], v172 offset0:136 offset1:170
	s_waitcnt vmcnt(3)
	v_mov_b32_e32 v0, v233
	v_mov_b32_e32 v63, v43
	s_waitcnt lgkmcnt(1)
	v_pk_mul_f32 v[66:67], v[32:33], v[0:1] op_sel_hi:[1,0]
	s_waitcnt vmcnt(2)
	v_mov_b32_e32 v0, v21
	v_pk_fma_f32 v[68:69], v[32:33], v[232:233], v[66:67] op_sel:[0,0,1] op_sel_hi:[1,1,0] neg_lo:[0,0,1] neg_hi:[0,0,1]
	v_pk_fma_f32 v[66:67], v[32:33], v[232:233], v[66:67] op_sel:[0,0,1] op_sel_hi:[1,0,0]
	v_pk_mul_f32 v[32:33], v[34:35], v[18:19] op_sel:[0,1]
	v_mov_b32_e32 v65, v45
	v_pk_fma_f32 v[70:71], v[34:35], v[18:19], v[32:33] op_sel:[0,0,1] op_sel_hi:[1,1,0] neg_lo:[0,0,1] neg_hi:[0,0,1]
	v_pk_fma_f32 v[72:73], v[34:35], v[18:19], v[32:33] op_sel:[0,0,1] op_sel_hi:[1,0,0]
	s_waitcnt lgkmcnt(0)
	v_pk_mul_f32 v[32:33], v[40:41], v[14:15] op_sel:[0,1]
	v_accvgpr_write_b32 a64, v3
	v_pk_fma_f32 v[74:75], v[40:41], v[14:15], v[32:33] op_sel:[0,0,1] op_sel_hi:[1,1,0] neg_lo:[0,0,1] neg_hi:[0,0,1]
	v_pk_fma_f32 v[76:77], v[40:41], v[14:15], v[32:33] op_sel:[0,0,1] op_sel_hi:[1,0,0]
	ds_read2_b64 v[32:35], v173 offset0:152 offset1:186
	v_pk_mul_f32 v[40:41], v[38:39], v[0:1] op_sel_hi:[1,0]
	v_mov_b32_e32 v0, v237
	v_pk_fma_f32 v[78:79], v[38:39], v[20:21], v[40:41] op_sel:[0,0,1] op_sel_hi:[1,1,0] neg_lo:[0,0,1] neg_hi:[0,0,1]
	v_pk_fma_f32 v[80:81], v[38:39], v[20:21], v[40:41] op_sel:[0,0,1] op_sel_hi:[1,0,0]
	s_waitcnt lgkmcnt(0)
	v_pk_mul_f32 v[38:39], v[32:33], v[0:1] op_sel_hi:[1,0]
	s_waitcnt vmcnt(1)
	v_mov_b32_e32 v0, v27
	v_pk_fma_f32 v[82:83], v[32:33], v[236:237], v[38:39] op_sel:[0,0,1] op_sel_hi:[1,1,0] neg_lo:[0,0,1] neg_hi:[0,0,1]
	v_pk_fma_f32 v[84:85], v[32:33], v[236:237], v[38:39] op_sel:[0,0,1] op_sel_hi:[1,0,0]
	ds_read2_b64 v[38:41], v173 offset0:220 offset1:254
	v_pk_mul_f32 v[32:33], v[34:35], v[24:25] op_sel:[0,1]
	v_accvgpr_read_b32 v3, a104             ;  Reload Reuse
	v_pk_fma_f32 v[86:87], v[34:35], v[24:25], v[32:33] op_sel:[0,0,1] op_sel_hi:[1,1,0] neg_lo:[0,0,1] neg_hi:[0,0,1]
	v_pk_fma_f32 v[88:89], v[34:35], v[24:25], v[32:33] op_sel:[0,0,1] op_sel_hi:[1,0,0]
	s_waitcnt lgkmcnt(0)
	v_pk_mul_f32 v[32:33], v[38:39], v[0:1] op_sel_hi:[1,0]
	v_accvgpr_read_b32 v2, a106             ;  Reload Reuse
	v_pk_fma_f32 v[90:91], v[38:39], v[26:27], v[32:33] op_sel:[0,0,1] op_sel_hi:[1,1,0] neg_lo:[0,0,1] neg_hi:[0,0,1]
	v_pk_fma_f32 v[38:39], v[38:39], v[26:27], v[32:33] op_sel:[0,0,1] op_sel_hi:[1,0,0]
	s_waitcnt vmcnt(0)
	v_pk_mul_f32 v[32:33], v[40:41], v[28:29] op_sel:[0,1]
	v_mov_b32_e32 v0, 0x121
	v_pk_fma_f32 v[92:93], v[40:41], v[28:29], v[32:33] op_sel:[0,0,1] op_sel_hi:[1,1,0] neg_lo:[0,0,1] neg_hi:[0,0,1]
	v_pk_fma_f32 v[40:41], v[40:41], v[28:29], v[32:33] op_sel:[0,0,1] op_sel_hi:[1,0,0]
	ds_read2_b64 v[32:35], v172 offset1:34
	v_cmp_lt_u16_e64 s[2:3], 16, v2
	v_mov_b32_e32 v2, v31
	v_mov_b32_e32 v91, v39
	v_cndmask_b32_e64 v0, 0, v0, s[2:3]
	s_waitcnt lgkmcnt(0)
	v_pk_mul_f32 v[42:43], v[34:35], v[230:231] op_sel:[0,1]
	v_add_u32_e32 v0, v36, v0
	v_pk_fma_f32 v[44:45], v[34:35], v[230:231], v[42:43] op_sel:[0,0,1] op_sel_hi:[1,1,0] neg_lo:[0,0,1] neg_hi:[0,0,1]
	v_pk_fma_f32 v[34:35], v[34:35], v[230:231], v[42:43] op_sel:[0,0,1] op_sel_hi:[1,0,0]
	v_mov_b32_e32 v69, v67
	v_mov_b32_e32 v45, v35
	ds_read_b64 v[34:35], v172 offset:4352
	v_mov_b32_e32 v71, v73
	v_mov_b32_e32 v79, v81
	;; [unrolled: 1-line block ×4, first 2 shown]
	s_waitcnt lgkmcnt(0)
	v_pk_mul_f32 v[36:37], v[34:35], v[2:3] op_sel_hi:[1,0]
	v_mov_b32_e32 v51, v53
	v_pk_fma_f32 v[38:39], v[34:35], v[30:31], v[36:37] op_sel:[0,0,1] op_sel_hi:[1,1,0] neg_lo:[0,0,1] neg_hi:[0,0,1]
	v_pk_fma_f32 v[34:35], v[34:35], v[30:31], v[36:37] op_sel:[0,0,1] op_sel_hi:[1,0,0]
	v_mov_b32_e32 v55, v57
	v_mov_b32_e32 v39, v35
	v_pk_add_f32 v[34:35], v[32:33], v[44:45]
	v_mov_b32_e32 v59, v61
	v_pk_add_f32 v[34:35], v[34:35], v[68:69]
	;; [unrolled: 2-line block ×5, first 2 shown]
	v_pk_add_f32 v[162:163], v[44:45], v[38:39]
	v_pk_add_f32 v[34:35], v[34:35], v[48:49]
	v_pk_add_f32 v[36:37], v[44:45], v[38:39] neg_lo:[0,1] neg_hi:[0,1]
	v_pk_add_f32 v[34:35], v[34:35], v[50:51]
	v_pk_add_f32 v[60:61], v[68:69], v[92:93] neg_lo:[0,1] neg_hi:[0,1]
	v_pk_add_f32 v[34:35], v[34:35], v[54:55]
	v_mov_b32_e32 v47, v163
	v_pk_add_f32 v[34:35], v[34:35], v[58:59]
	v_mov_b32_e32 v163, v36
	v_pk_add_f32 v[34:35], v[34:35], v[62:63]
	v_pk_add_f32 v[150:151], v[68:69], v[92:93]
	;; [unrolled: 1-line block ×3, first 2 shown]
	v_mov_b32_e32 v46, v37
	v_pk_add_f32 v[34:35], v[34:35], v[82:83]
	s_mov_b32 s2, s13
	v_pk_add_f32 v[34:35], v[34:35], v[86:87]
	v_pk_mul_f32 v[36:37], v[60:61], s[12:13] op_sel:[1,0] op_sel_hi:[0,0]
	v_pk_add_f32 v[34:35], v[34:35], v[90:91]
	v_pk_mul_f32 v[2:3], v[162:163], s[66:67]
	v_pk_add_f32 v[34:35], v[34:35], v[92:93]
	v_pk_add_f32 v[146:147], v[54:55], v[58:59]
	v_pk_add_f32 v[148:149], v[54:55], v[58:59] neg_lo:[0,1] neg_hi:[0,1]
	v_pk_add_f32 v[152:153], v[50:51], v[62:63]
	v_pk_add_f32 v[154:155], v[50:51], v[62:63] neg_lo:[0,1] neg_hi:[0,1]
	v_pk_add_f32 v[58:59], v[34:35], v[38:39]
	v_pk_fma_f32 v[34:35], v[150:151], s[2:3], v[36:37] op_sel_hi:[1,0,1]
	v_pk_fma_f32 v[38:39], v[150:151], s[2:3], v[36:37] op_sel_hi:[1,0,1] neg_lo:[0,0,1] neg_hi:[0,0,1]
	v_pk_fma_f32 v[36:37], v[46:47], s[16:17], v[2:3] neg_lo:[1,0,0] neg_hi:[1,0,0]
	v_pk_fma_f32 v[50:51], v[46:47], s[16:17], v[2:3]
	v_pk_add_f32 v[158:159], v[70:71], v[90:91] neg_lo:[0,1] neg_hi:[0,1]
	v_mov_b32_e32 v37, v51
	v_pk_add_f32 v[156:157], v[70:71], v[90:91]
	v_pk_add_f32 v[166:167], v[78:79], v[86:87] neg_lo:[0,1] neg_hi:[0,1]
	v_pk_add_f32 v[40:41], v[32:33], v[36:37]
	v_mov_b32_e32 v37, v39
	v_mov_b32_e32 v39, v35
	v_pk_mul_f32 v[42:43], v[158:159], s[18:19] op_sel:[1,0] op_sel_hi:[0,0]
	v_pk_add_f32 v[160:161], v[78:79], v[86:87]
	v_accvgpr_write_b32 a41, v3
	v_pk_add_f32 v[40:41], v[38:39], v[40:41]
	v_pk_fma_f32 v[38:39], v[156:157], s[70:71], v[42:43] op_sel_hi:[1,0,1]
	v_pk_fma_f32 v[42:43], v[156:157], s[70:71], v[42:43] op_sel_hi:[1,0,1] neg_lo:[0,0,1] neg_hi:[0,0,1]
	s_mov_b32 s66, s15
	v_pk_mul_f32 v[44:45], v[166:167], s[14:15] op_sel:[1,0] op_sel_hi:[0,0]
	v_accvgpr_write_b32 a40, v2
	v_mov_b32_e32 v35, v43
	v_mov_b32_e32 v43, v39
	v_pk_fma_f32 v[2:3], v[160:161], s[66:67], v[44:45] op_sel_hi:[1,0,1]
	v_pk_fma_f32 v[44:45], v[160:161], s[66:67], v[44:45] op_sel_hi:[1,0,1] neg_lo:[0,0,1] neg_hi:[0,0,1]
	v_pk_add_f32 v[176:177], v[74:75], v[82:83] neg_lo:[0,1] neg_hi:[0,1]
	v_pk_add_f32 v[42:43], v[42:43], v[40:41]
	v_mov_b32_e32 v39, v45
	v_mov_b32_e32 v45, v3
	v_pk_add_f32 v[164:165], v[48:49], v[64:65]
	v_pk_add_f32 v[168:169], v[48:49], v[64:65] neg_lo:[0,1] neg_hi:[0,1]
	v_pk_add_f32 v[170:171], v[74:75], v[82:83]
	v_pk_add_f32 v[48:49], v[44:45], v[42:43]
	v_pk_mul_f32 v[42:43], v[176:177], s[22:23] op_sel:[1,0] op_sel_hi:[0,0]
	v_pk_fma_f32 v[44:45], v[170:171], s[74:75], v[42:43] op_sel_hi:[1,0,1]
	v_pk_fma_f32 v[52:53], v[170:171], s[74:75], v[42:43] op_sel_hi:[1,0,1] neg_lo:[0,0,1] neg_hi:[0,0,1]
	v_pk_mul_f32 v[54:55], v[168:169], s[20:21] op_sel:[1,0] op_sel_hi:[0,0]
	v_mov_b32_e32 v43, v53
	v_mov_b32_e32 v53, v45
	v_pk_add_f32 v[52:53], v[52:53], v[48:49]
	v_pk_fma_f32 v[48:49], v[164:165], s[76:77], v[54:55] op_sel_hi:[1,0,1]
	v_pk_fma_f32 v[54:55], v[164:165], s[76:77], v[54:55] op_sel_hi:[1,0,1] neg_lo:[0,0,1] neg_hi:[0,0,1]
	v_pk_mul_f32 v[62:63], v[154:155], s[26:27] op_sel:[1,0] op_sel_hi:[0,0]
	v_mov_b32_e32 v45, v55
	v_mov_b32_e32 v55, v49
	v_pk_add_f32 v[54:55], v[54:55], v[52:53]
	v_pk_fma_f32 v[52:53], v[152:153], s[72:73], v[62:63] op_sel_hi:[1,0,1]
	v_pk_fma_f32 v[62:63], v[152:153], s[72:73], v[62:63] op_sel_hi:[1,0,1] neg_lo:[0,0,1] neg_hi:[0,0,1]
	v_pk_mul_f32 v[64:65], v[148:149], s[24:25] op_sel:[1,0] op_sel_hi:[0,0]
	v_accvgpr_write_b32 a36, v2
	v_mov_b32_e32 v49, v63
	v_mov_b32_e32 v63, v53
	v_pk_fma_f32 v[2:3], v[146:147], s[78:79], v[64:65] op_sel_hi:[1,0,1]
	v_pk_fma_f32 v[64:65], v[146:147], s[78:79], v[64:65] op_sel_hi:[1,0,1] neg_lo:[0,0,1] neg_hi:[0,0,1]
	v_pk_add_f32 v[62:63], v[62:63], v[54:55]
	v_mov_b32_e32 v53, v65
	v_mov_b32_e32 v65, v3
	v_pk_add_f32 v[62:63], v[64:65], v[62:63]
	v_lshl_add_u32 v12, v0, 3, v13
	v_pk_mul_f32 v[0:1], v[162:163], s[60:61]
	s_barrier
	ds_write2_b64 v12, v[58:59], v[62:63] offset1:17
	v_mov_b32_e32 v59, v151
	v_mov_b32_e32 v151, v60
	v_accvgpr_write_b32 a45, v1
	v_mov_b32_e32 v58, v61
	v_mov_b32_e32 v36, v61
	v_pk_fma_f32 v[64:65], v[46:47], s[12:13], v[0:1] neg_lo:[1,0,0] neg_hi:[1,0,0]
	v_pk_fma_f32 v[130:131], v[46:47], s[12:13], v[0:1]
	v_accvgpr_write_b32 a44, v0
	v_pk_mul_f32 v[0:1], v[150:151], s[52:53]
	v_mov_b32_e32 v65, v131
	v_pk_fma_f32 v[66:67], v[36:37], s[14:15], v[0:1] neg_lo:[1,0,0] neg_hi:[1,0,0]
	v_pk_fma_f32 v[62:63], v[58:59], s[14:15], v[0:1]
	v_pk_add_f32 v[64:65], v[32:33], v[64:65]
	v_mov_b32_e32 v67, v63
	v_accvgpr_write_b32 a43, v1
	v_pk_add_f32 v[64:65], v[66:67], v[64:65]
	v_pk_mul_f32 v[66:67], v[158:159], s[20:21] op_sel:[1,0] op_sel_hi:[0,0]
	v_accvgpr_write_b32 a42, v0
	v_pk_fma_f32 v[0:1], v[156:157], s[76:77], v[66:67] op_sel_hi:[1,0,1] neg_lo:[0,0,1] neg_hi:[0,0,1]
	v_pk_fma_f32 v[120:121], v[156:157], s[76:77], v[66:67] op_sel_hi:[1,0,1]
	v_mov_b32_e32 v66, v0
	v_mov_b32_e32 v67, v121
	v_pk_add_f32 v[64:65], v[66:67], v[64:65]
	v_pk_mul_f32 v[66:67], v[166:167], s[24:25] op_sel:[1,0] op_sel_hi:[0,0]
	v_accvgpr_write_b32 a60, v21
	v_mov_b32_e32 v21, v1
	v_pk_fma_f32 v[0:1], v[160:161], s[78:79], v[66:67] op_sel_hi:[1,0,1] neg_lo:[0,0,1] neg_hi:[0,0,1]
	v_pk_fma_f32 v[124:125], v[160:161], s[78:79], v[66:67] op_sel_hi:[1,0,1]
	v_mov_b32_e32 v66, v0
	v_mov_b32_e32 v67, v125
	v_pk_add_f32 v[64:65], v[66:67], v[64:65]
	v_pk_mul_f32 v[66:67], v[176:177], s[28:29] op_sel:[1,0] op_sel_hi:[0,0]
	v_accvgpr_write_b32 a66, v27
	v_mov_b32_e32 v27, v1
	;; [unrolled: 8-line block ×3, first 2 shown]
	v_pk_fma_f32 v[0:1], v[164:165], s[74:75], v[66:67] op_sel_hi:[1,0,1] neg_lo:[0,0,1] neg_hi:[0,0,1]
	v_pk_fma_f32 v[128:129], v[164:165], s[74:75], v[66:67] op_sel_hi:[1,0,1]
	v_mov_b32_e32 v66, v0
	v_mov_b32_e32 v67, v129
	v_pk_add_f32 v[64:65], v[66:67], v[64:65]
	v_pk_mul_f32 v[66:67], v[154:155], s[36:37] op_sel:[1,0] op_sel_hi:[0,0]
	v_mov_b32_e32 v63, v1
	v_pk_fma_f32 v[0:1], v[152:153], s[70:71], v[66:67] op_sel_hi:[1,0,1] neg_lo:[0,0,1] neg_hi:[0,0,1]
	v_pk_fma_f32 v[132:133], v[152:153], s[70:71], v[66:67] op_sel_hi:[1,0,1]
	v_mov_b32_e32 v66, v0
	v_mov_b32_e32 v67, v133
	v_pk_add_f32 v[64:65], v[66:67], v[64:65]
	s_mov_b32 s60, s17
	v_pk_mul_f32 v[66:67], v[148:149], s[40:41] op_sel:[1,0] op_sel_hi:[0,0]
	v_mov_b32_e32 v121, v1
	v_pk_fma_f32 v[0:1], v[146:147], s[60:61], v[66:67] op_sel_hi:[1,0,1] neg_lo:[0,0,1] neg_hi:[0,0,1]
	v_pk_fma_f32 v[138:139], v[146:147], s[60:61], v[66:67] op_sel_hi:[1,0,1]
	v_mov_b32_e32 v66, v0
	v_mov_b32_e32 v67, v139
	v_pk_mul_f32 v[200:201], v[162:163], s[56:57]
	v_pk_add_f32 v[64:65], v[66:67], v[64:65]
	v_pk_fma_f32 v[66:67], v[46:47], s[18:19], v[200:201] neg_lo:[1,0,0] neg_hi:[1,0,0]
	v_pk_fma_f32 v[182:183], v[46:47], s[18:19], v[200:201]
	v_pk_mul_f32 v[136:137], v[150:151], s[42:43]
	v_mov_b32_e32 v67, v183
	v_pk_fma_f32 v[68:69], v[36:37], s[20:21], v[136:137] neg_lo:[1,0,0] neg_hi:[1,0,0]
	v_pk_fma_f32 v[174:175], v[58:59], s[20:21], v[136:137]
	v_pk_add_f32 v[66:67], v[32:33], v[66:67]
	v_mov_b32_e32 v69, v175
	v_pk_add_f32 v[66:67], v[68:69], v[66:67]
	v_pk_mul_f32 v[68:69], v[158:159], s[68:69] op_sel:[1,0] op_sel_hi:[0,0]
	v_mov_b32_e32 v125, v1
	v_pk_fma_f32 v[0:1], v[156:157], s[78:79], v[68:69] op_sel_hi:[1,0,1] neg_lo:[0,0,1] neg_hi:[0,0,1]
	v_pk_fma_f32 v[180:181], v[156:157], s[78:79], v[68:69] op_sel_hi:[1,0,1]
	v_mov_b32_e32 v68, v0
	v_mov_b32_e32 v69, v181
	v_pk_add_f32 v[66:67], v[68:69], v[66:67]
	v_pk_mul_f32 v[68:69], v[166:167], s[34:35] op_sel:[1,0] op_sel_hi:[0,0]
	v_mov_b32_e32 v127, v1
	v_pk_fma_f32 v[0:1], v[160:161], s[74:75], v[68:69] op_sel_hi:[1,0,1] neg_lo:[0,0,1] neg_hi:[0,0,1]
	v_pk_fma_f32 v[186:187], v[160:161], s[74:75], v[68:69] op_sel_hi:[1,0,1]
	v_mov_b32_e32 v68, v0
	v_mov_b32_e32 v69, v187
	v_pk_add_f32 v[66:67], v[68:69], v[66:67]
	v_pk_mul_f32 v[68:69], v[176:177], s[50:51] op_sel:[1,0] op_sel_hi:[0,0]
	v_mov_b32_e32 v129, v1
	v_pk_fma_f32 v[0:1], v[170:171], s[2:3], v[68:69] op_sel_hi:[1,0,1] neg_lo:[0,0,1] neg_hi:[0,0,1]
	v_pk_fma_f32 v[188:189], v[170:171], s[2:3], v[68:69] op_sel_hi:[1,0,1]
	v_mov_b32_e32 v68, v0
	v_mov_b32_e32 v69, v189
	v_pk_add_f32 v[66:67], v[68:69], v[66:67]
	v_pk_mul_f32 v[68:69], v[168:169], s[16:17] op_sel:[1,0] op_sel_hi:[0,0]
	v_mov_b32_e32 v133, v1
	v_pk_fma_f32 v[0:1], v[164:165], s[60:61], v[68:69] op_sel_hi:[1,0,1] neg_lo:[0,0,1] neg_hi:[0,0,1]
	v_pk_fma_f32 v[190:191], v[164:165], s[60:61], v[68:69] op_sel_hi:[1,0,1]
	v_mov_b32_e32 v68, v0
	v_mov_b32_e32 v69, v191
	v_pk_add_f32 v[66:67], v[68:69], v[66:67]
	v_pk_mul_f32 v[68:69], v[154:155], s[14:15] op_sel:[1,0] op_sel_hi:[0,0]
	v_mov_b32_e32 v139, v1
	v_pk_fma_f32 v[0:1], v[152:153], s[66:67], v[68:69] op_sel_hi:[1,0,1] neg_lo:[0,0,1] neg_hi:[0,0,1]
	v_pk_fma_f32 v[194:195], v[152:153], s[66:67], v[68:69] op_sel_hi:[1,0,1]
	v_mov_b32_e32 v68, v0
	v_mov_b32_e32 v69, v195
	v_pk_add_f32 v[66:67], v[68:69], v[66:67]
	v_pk_mul_f32 v[68:69], v[148:149], s[26:27] op_sel:[1,0] op_sel_hi:[0,0]
	v_mov_b32_e32 v175, v1
	v_pk_fma_f32 v[0:1], v[146:147], s[72:73], v[68:69] op_sel_hi:[1,0,1] neg_lo:[0,0,1] neg_hi:[0,0,1]
	v_pk_fma_f32 v[198:199], v[146:147], s[72:73], v[68:69] op_sel_hi:[1,0,1]
	v_mov_b32_e32 v68, v0
	v_mov_b32_e32 v69, v199
	v_pk_add_f32 v[66:67], v[68:69], v[66:67]
	v_pk_mul_f32 v[208:209], v[162:163], s[52:53]
	ds_write2_b64 v12, v[64:65], v[66:67] offset0:34 offset1:51
	v_pk_fma_f32 v[64:65], v[46:47], s[14:15], v[208:209] neg_lo:[1,0,0] neg_hi:[1,0,0]
	v_pk_fma_f32 v[206:207], v[46:47], s[14:15], v[208:209]
	v_pk_mul_f32 v[56:57], v[150:151], s[30:31]
	v_mov_b32_e32 v65, v207
	v_pk_fma_f32 v[66:67], v[36:37], s[24:25], v[56:57] neg_lo:[1,0,0] neg_hi:[1,0,0]
	v_pk_fma_f32 v[210:211], v[58:59], s[24:25], v[56:57]
	v_pk_add_f32 v[64:65], v[32:33], v[64:65]
	v_mov_b32_e32 v67, v211
	v_pk_add_f32 v[64:65], v[66:67], v[64:65]
	v_pk_mul_f32 v[66:67], v[158:159], s[34:35] op_sel:[1,0] op_sel_hi:[0,0]
	v_pk_fma_f32 v[60:61], v[156:157], s[74:75], v[66:67] op_sel_hi:[1,0,1] neg_lo:[0,0,1] neg_hi:[0,0,1]
	v_pk_fma_f32 v[216:217], v[156:157], s[74:75], v[66:67] op_sel_hi:[1,0,1]
	v_mov_b32_e32 v66, v60
	v_mov_b32_e32 v67, v217
	v_pk_add_f32 v[64:65], v[66:67], v[64:65]
	v_pk_mul_f32 v[66:67], v[166:167], s[40:41] op_sel:[1,0] op_sel_hi:[0,0]
	v_pk_fma_f32 v[218:219], v[160:161], s[60:61], v[66:67] op_sel_hi:[1,0,1] neg_lo:[0,0,1] neg_hi:[0,0,1]
	v_pk_fma_f32 v[220:221], v[160:161], s[60:61], v[66:67] op_sel_hi:[1,0,1]
	v_mov_b32_e32 v66, v218
	;; [unrolled: 6-line block ×6, first 2 shown]
	v_mov_b32_e32 v67, v229
	v_pk_add_f32 v[100:101], v[66:67], v[64:65]
	v_pk_mul_f32 v[66:67], v[162:163], s[46:47]
	v_pk_mul_f32 v[70:71], v[150:151], s[58:59]
	v_pk_fma_f32 v[72:73], v[46:47], s[22:23], v[66:67] neg_lo:[1,0,0] neg_hi:[1,0,0]
	v_pk_fma_f32 v[64:65], v[46:47], s[22:23], v[66:67]
	v_pk_fma_f32 v[74:75], v[36:37], s[28:29], v[70:71] neg_lo:[1,0,0] neg_hi:[1,0,0]
	v_mov_b32_e32 v73, v65
	v_pk_fma_f32 v[68:69], v[58:59], s[28:29], v[70:71]
	v_pk_add_f32 v[72:73], v[32:33], v[72:73]
	v_mov_b32_e32 v75, v69
	v_pk_mul_f32 v[76:77], v[158:159], s[50:51] op_sel:[1,0] op_sel_hi:[0,0]
	v_pk_add_f32 v[72:73], v[74:75], v[72:73]
	v_pk_fma_f32 v[74:75], v[156:157], s[2:3], v[76:77] op_sel_hi:[1,0,1] neg_lo:[0,0,1] neg_hi:[0,0,1]
	v_pk_fma_f32 v[76:77], v[156:157], s[2:3], v[76:77] op_sel_hi:[1,0,1]
	v_mov_b32_e32 v78, v74
	v_mov_b32_e32 v79, v77
	v_pk_mul_f32 v[80:81], v[166:167], s[18:19] op_sel:[1,0] op_sel_hi:[0,0]
	v_pk_add_f32 v[72:73], v[78:79], v[72:73]
	v_pk_fma_f32 v[78:79], v[160:161], s[70:71], v[80:81] op_sel_hi:[1,0,1] neg_lo:[0,0,1] neg_hi:[0,0,1]
	v_pk_fma_f32 v[80:81], v[160:161], s[70:71], v[80:81] op_sel_hi:[1,0,1]
	v_mov_b32_e32 v84, v78
	v_mov_b32_e32 v85, v81
	v_pk_add_f32 v[72:73], v[84:85], v[72:73]
	v_pk_mul_f32 v[84:85], v[176:177], s[24:25] op_sel:[1,0] op_sel_hi:[0,0]
	v_pk_fma_f32 v[92:93], v[170:171], s[78:79], v[84:85] op_sel_hi:[1,0,1] neg_lo:[0,0,1] neg_hi:[0,0,1]
	v_pk_fma_f32 v[84:85], v[170:171], s[78:79], v[84:85] op_sel_hi:[1,0,1]
	v_mov_b32_e32 v86, v92
	v_mov_b32_e32 v87, v85
	v_pk_add_f32 v[88:89], v[86:87], v[72:73]
	v_pk_mul_f32 v[86:87], v[168:169], s[64:65] op_sel:[1,0] op_sel_hi:[0,0]
	;; [unrolled: 6-line block ×4, first 2 shown]
	v_pk_fma_f32 v[96:97], v[146:147], s[76:77], v[90:91] op_sel_hi:[1,0,1] neg_lo:[0,0,1] neg_hi:[0,0,1]
	v_pk_fma_f32 v[90:91], v[146:147], s[76:77], v[90:91] op_sel_hi:[1,0,1]
	v_mov_b32_e32 v104, v96
	v_mov_b32_e32 v105, v91
	v_pk_add_f32 v[102:103], v[104:105], v[102:103]
	ds_write2_b64 v12, v[100:101], v[102:103] offset0:68 offset1:85
	v_pk_mul_f32 v[100:101], v[162:163], s[42:43]
	v_pk_mul_f32 v[106:107], v[150:151], s[54:55]
	v_pk_fma_f32 v[102:103], v[46:47], s[20:21], v[100:101] neg_lo:[1,0,0] neg_hi:[1,0,0]
	v_pk_fma_f32 v[104:105], v[46:47], s[20:21], v[100:101]
	v_pk_fma_f32 v[108:109], v[36:37], s[34:35], v[106:107] neg_lo:[1,0,0] neg_hi:[1,0,0]
	v_mov_b32_e32 v103, v105
	v_pk_fma_f32 v[110:111], v[58:59], s[34:35], v[106:107]
	v_pk_add_f32 v[102:103], v[32:33], v[102:103]
	v_mov_b32_e32 v109, v111
	v_pk_add_f32 v[102:103], v[108:109], v[102:103]
	v_pk_mul_f32 v[108:109], v[158:159], s[16:17] op_sel:[1,0] op_sel_hi:[0,0]
	v_pk_fma_f32 v[112:113], v[156:157], s[60:61], v[108:109] op_sel_hi:[1,0,1] neg_lo:[0,0,1] neg_hi:[0,0,1]
	v_pk_fma_f32 v[108:109], v[156:157], s[60:61], v[108:109] op_sel_hi:[1,0,1]
	v_mov_b32_e32 v116, v112
	v_mov_b32_e32 v117, v109
	v_pk_add_f32 v[102:103], v[116:117], v[102:103]
	v_pk_mul_f32 v[116:117], v[166:167], s[26:27] op_sel:[1,0] op_sel_hi:[0,0]
	v_pk_fma_f32 v[238:239], v[160:161], s[72:73], v[116:117] op_sel_hi:[1,0,1] neg_lo:[0,0,1] neg_hi:[0,0,1]
	v_pk_fma_f32 v[116:117], v[160:161], s[72:73], v[116:117] op_sel_hi:[1,0,1]
	v_mov_b32_e32 v240, v238
	;; [unrolled: 6-line block ×6, first 2 shown]
	v_mov_b32_e32 v255, v253
	v_pk_add_f32 v[102:103], v[254:255], v[102:103]
	v_pk_mul_f32 v[254:255], v[162:163], s[38:39]
	v_pk_mul_f32 v[134:135], v[150:151], s[48:49]
	v_pk_fma_f32 v[114:115], v[46:47], s[26:27], v[254:255] neg_lo:[1,0,0] neg_hi:[1,0,0]
	v_pk_fma_f32 v[122:123], v[46:47], s[26:27], v[254:255]
	v_pk_fma_f32 v[178:179], v[36:37], s[36:37], v[134:135] neg_lo:[1,0,0] neg_hi:[1,0,0]
	v_mov_b32_e32 v115, v123
	v_pk_fma_f32 v[184:185], v[58:59], s[36:37], v[134:135]
	v_pk_add_f32 v[114:115], v[32:33], v[114:115]
	v_mov_b32_e32 v179, v185
	v_pk_add_f32 v[114:115], v[178:179], v[114:115]
	v_pk_mul_f32 v[178:179], v[158:159], s[14:15] op_sel:[1,0] op_sel_hi:[0,0]
	v_pk_fma_f32 v[196:197], v[156:157], s[66:67], v[178:179] op_sel_hi:[1,0,1] neg_lo:[0,0,1] neg_hi:[0,0,1]
	v_pk_fma_f32 v[178:179], v[156:157], s[66:67], v[178:179] op_sel_hi:[1,0,1]
	v_mov_b32_e32 v192, v196
	v_mov_b32_e32 v193, v179
	v_pk_add_f32 v[114:115], v[192:193], v[114:115]
	v_pk_mul_f32 v[192:193], v[166:167], s[62:63] op_sel:[1,0] op_sel_hi:[0,0]
	v_pk_fma_f32 v[204:205], v[160:161], s[76:77], v[192:193] op_sel_hi:[1,0,1] neg_lo:[0,0,1] neg_hi:[0,0,1]
	v_pk_fma_f32 v[192:193], v[160:161], s[76:77], v[192:193] op_sel_hi:[1,0,1]
	v_mov_b32_e32 v202, v204
	;; [unrolled: 6-line block ×4, first 2 shown]
	v_mov_b32_e32 v145, v141
	v_pk_add_f32 v[10:11], v[144:145], v[114:115]
	v_pk_mul_f32 v[114:115], v[154:155], s[50:51] op_sel:[1,0] op_sel_hi:[0,0]
	v_mov_b32_e32 v181, v1
	v_pk_fma_f32 v[0:1], v[152:153], s[2:3], v[114:115] op_sel_hi:[1,0,1] neg_lo:[0,0,1] neg_hi:[0,0,1]
	v_pk_fma_f32 v[114:115], v[152:153], s[2:3], v[114:115] op_sel_hi:[1,0,1]
	v_mov_b32_e32 v144, v0
	v_mov_b32_e32 v145, v115
	v_accvgpr_write_b32 a38, v2
	v_pk_add_f32 v[2:3], v[144:145], v[10:11]
	v_pk_mul_f32 v[10:11], v[148:149], s[22:23] op_sel:[1,0] op_sel_hi:[0,0]
	v_pk_fma_f32 v[4:5], v[146:147], s[74:75], v[10:11] op_sel_hi:[1,0,1] neg_lo:[0,0,1] neg_hi:[0,0,1]
	v_pk_fma_f32 v[10:11], v[146:147], s[74:75], v[10:11] op_sel_hi:[1,0,1]
	v_mov_b32_e32 v144, v4
	v_mov_b32_e32 v145, v11
	v_pk_add_f32 v[2:3], v[144:145], v[2:3]
	ds_write2_b64 v12, v[102:103], v[2:3] offset0:102 offset1:119
	v_pk_mul_f32 v[102:103], v[168:169], s[36:37] op_sel:[1,0] op_sel_hi:[0,0]
	v_pk_mul_f32 v[154:155], v[154:155], s[22:23] op_sel:[1,0] op_sel_hi:[0,0]
	;; [unrolled: 1-line block ×3, first 2 shown]
	v_pk_fma_f32 v[144:145], v[164:165], s[70:71], v[102:103] op_sel_hi:[1,0,1] neg_lo:[0,0,1] neg_hi:[0,0,1]
	v_pk_fma_f32 v[102:103], v[164:165], s[70:71], v[102:103] op_sel_hi:[1,0,1]
	v_pk_fma_f32 v[164:165], v[152:153], s[74:75], v[154:155] op_sel_hi:[1,0,1] neg_lo:[0,0,1] neg_hi:[0,0,1]
	v_pk_fma_f32 v[152:153], v[152:153], s[74:75], v[154:155] op_sel_hi:[1,0,1]
	;; [unrolled: 2-line block ×3, first 2 shown]
	v_pk_mul_f32 v[148:149], v[162:163], s[30:31]
	v_pk_mul_f32 v[2:3], v[176:177], s[20:21] op_sel:[1,0] op_sel_hi:[0,0]
	v_pk_fma_f32 v[162:163], v[46:47], s[24:25], v[148:149] neg_lo:[1,0,0] neg_hi:[1,0,0]
	v_pk_fma_f32 v[168:169], v[46:47], s[24:25], v[148:149]
	v_pk_mul_f32 v[150:151], v[150:151], s[44:45]
	v_pk_fma_f32 v[6:7], v[170:171], s[76:77], v[2:3] op_sel_hi:[1,0,1] neg_lo:[0,0,1] neg_hi:[0,0,1]
	v_pk_fma_f32 v[2:3], v[170:171], s[76:77], v[2:3] op_sel_hi:[1,0,1]
	v_mov_b32_e32 v163, v169
	v_pk_fma_f32 v[170:171], v[36:37], s[40:41], v[150:151] neg_lo:[1,0,0] neg_hi:[1,0,0]
	v_pk_fma_f32 v[176:177], v[58:59], s[40:41], v[150:151]
	v_pk_add_f32 v[162:163], v[32:33], v[162:163]
	v_mov_b32_e32 v171, v177
	v_pk_mul_f32 v[158:159], v[158:159], s[26:27] op_sel:[1,0] op_sel_hi:[0,0]
	v_pk_add_f32 v[162:163], v[170:171], v[162:163]
	v_pk_fma_f32 v[170:171], v[156:157], s[72:73], v[158:159] op_sel_hi:[1,0,1] neg_lo:[0,0,1] neg_hi:[0,0,1]
	v_pk_fma_f32 v[156:157], v[156:157], s[72:73], v[158:159] op_sel_hi:[1,0,1]
	v_mov_b32_e32 v158, v170
	v_mov_b32_e32 v159, v157
	v_pk_add_f32 v[158:159], v[158:159], v[162:163]
	v_pk_mul_f32 v[162:163], v[166:167], s[50:51] op_sel:[1,0] op_sel_hi:[0,0]
	v_pk_fma_f32 v[166:167], v[160:161], s[2:3], v[162:163] op_sel_hi:[1,0,1] neg_lo:[0,0,1] neg_hi:[0,0,1]
	v_pk_fma_f32 v[160:161], v[160:161], s[2:3], v[162:163] op_sel_hi:[1,0,1]
	v_mov_b32_e32 v162, v166
	v_mov_b32_e32 v163, v161
	v_pk_add_f32 v[158:159], v[162:163], v[158:159]
	v_mov_b32_e32 v162, v6
	v_mov_b32_e32 v163, v3
	;; [unrolled: 1-line block ×3, first 2 shown]
	v_pk_fma_f32 v[6:7], v[46:47], s[24:25], v[148:149] neg_lo:[0,0,1] neg_hi:[0,0,1]
	v_mov_b32_e32 v157, v171
	v_mov_b32_e32 v169, v7
	v_pk_fma_f32 v[6:7], v[58:59], s[40:41], v[150:151] neg_lo:[0,0,1] neg_hi:[0,0,1]
	v_mov_b32_e32 v161, v167
	v_mov_b32_e32 v177, v7
	v_pk_add_f32 v[6:7], v[32:33], v[168:169]
	v_pk_add_f32 v[158:159], v[162:163], v[158:159]
	;; [unrolled: 1-line block ×3, first 2 shown]
	v_mov_b32_e32 v162, v144
	v_pk_add_f32 v[6:7], v[156:157], v[6:7]
	v_mov_b32_e32 v163, v103
	v_pk_add_f32 v[6:7], v[160:161], v[6:7]
	;; [unrolled: 2-line block ×3, first 2 shown]
	v_pk_add_f32 v[158:159], v[162:163], v[158:159]
	v_mov_b32_e32 v162, v164
	v_mov_b32_e32 v163, v153
	;; [unrolled: 1-line block ×3, first 2 shown]
	v_pk_add_f32 v[2:3], v[102:103], v[2:3]
	v_pk_add_f32 v[158:159], v[162:163], v[158:159]
	v_mov_b32_e32 v162, v154
	v_mov_b32_e32 v163, v147
	;; [unrolled: 1-line block ×3, first 2 shown]
	v_pk_add_f32 v[2:3], v[152:153], v[2:3]
	v_pk_add_f32 v[158:159], v[162:163], v[158:159]
	;; [unrolled: 1-line block ×3, first 2 shown]
	ds_write2_b64 v12, v[158:159], v[2:3] offset0:136 offset1:153
	v_mov_b32_e32 v115, v1
	v_pk_fma_f32 v[0:1], v[46:47], s[26:27], v[254:255] neg_lo:[0,0,1] neg_hi:[0,0,1]
	v_pk_fma_f32 v[2:3], v[46:47], s[20:21], v[100:101] neg_lo:[0,0,1] neg_hi:[0,0,1]
	v_mov_b32_e32 v123, v1
	v_pk_fma_f32 v[0:1], v[58:59], s[36:37], v[134:135] neg_lo:[0,0,1] neg_hi:[0,0,1]
	v_mov_b32_e32 v105, v3
	;; [unrolled: 2-line block ×3, first 2 shown]
	v_pk_add_f32 v[0:1], v[32:33], v[122:123]
	v_mov_b32_e32 v111, v3
	v_pk_add_f32 v[2:3], v[32:33], v[104:105]
	v_pk_add_f32 v[0:1], v[184:185], v[0:1]
	v_mov_b32_e32 v179, v197
	v_pk_add_f32 v[2:3], v[110:111], v[2:3]
	v_mov_b32_e32 v109, v113
	;; [unrolled: 2-line block ×4, first 2 shown]
	v_mov_b32_e32 v203, v143
	v_pk_add_f32 v[0:1], v[192:193], v[0:1]
	v_mov_b32_e32 v241, v243
	v_pk_add_f32 v[2:3], v[116:117], v[2:3]
	;; [unrolled: 2-line block ×4, first 2 shown]
	v_pk_add_f32 v[0:1], v[140:141], v[0:1]
	v_mov_b32_e32 v249, v251
	v_pk_add_f32 v[2:3], v[244:245], v[2:3]
	v_mov_b32_e32 v11, v5
	;; [unrolled: 2-line block ×3, first 2 shown]
	v_pk_add_f32 v[2:3], v[248:249], v[2:3]
	v_pk_add_f32 v[0:1], v[10:11], v[0:1]
	;; [unrolled: 1-line block ×3, first 2 shown]
	ds_write2_b64 v12, v[0:1], v[2:3] offset0:170 offset1:187
	v_pk_fma_f32 v[0:1], v[46:47], s[22:23], v[66:67] neg_lo:[0,0,1] neg_hi:[0,0,1]
	v_pk_fma_f32 v[2:3], v[46:47], s[14:15], v[208:209] neg_lo:[0,0,1] neg_hi:[0,0,1]
	v_mov_b32_e32 v65, v1
	v_pk_fma_f32 v[0:1], v[58:59], s[28:29], v[70:71] neg_lo:[0,0,1] neg_hi:[0,0,1]
	v_mov_b32_e32 v207, v3
	;; [unrolled: 2-line block ×3, first 2 shown]
	v_pk_add_f32 v[0:1], v[32:33], v[64:65]
	v_mov_b32_e32 v211, v3
	v_pk_add_f32 v[2:3], v[32:33], v[206:207]
	v_pk_add_f32 v[0:1], v[68:69], v[0:1]
	v_mov_b32_e32 v77, v75
	v_pk_add_f32 v[2:3], v[210:211], v[2:3]
	v_mov_b32_e32 v217, v61
	;; [unrolled: 2-line block ×4, first 2 shown]
	v_mov_b32_e32 v85, v93
	v_pk_add_f32 v[0:1], v[80:81], v[0:1]
	v_mov_b32_e32 v223, v99
	v_pk_add_f32 v[2:3], v[220:221], v[2:3]
	;; [unrolled: 2-line block ×8, first 2 shown]
	v_pk_add_f32 v[0:1], v[90:91], v[0:1]
	v_pk_add_f32 v[2:3], v[228:229], v[2:3]
	ds_write2_b64 v12, v[0:1], v[2:3] offset0:204 offset1:221
	v_accvgpr_read_b32 v0, a40
	v_accvgpr_read_b32 v1, a41
	v_pk_fma_f32 v[0:1], v[46:47], s[16:17], v[0:1] neg_lo:[0,0,1] neg_hi:[0,0,1]
	v_pk_fma_f32 v[6:7], v[58:59], s[20:21], v[136:137] neg_lo:[0,0,1] neg_hi:[0,0,1]
	v_mov_b32_e32 v51, v1
	v_pk_fma_f32 v[0:1], v[46:47], s[18:19], v[200:201] neg_lo:[0,0,1] neg_hi:[0,0,1]
	v_mov_b32_e32 v195, v175
	v_mov_b32_e32 v183, v1
	v_accvgpr_read_b32 v0, a44
	v_accvgpr_read_b32 v1, a45
	v_mov_b32_e32 v175, v7
	v_accvgpr_read_b32 v6, a42
	v_pk_fma_f32 v[0:1], v[46:47], s[12:13], v[0:1] neg_lo:[0,0,1] neg_hi:[0,0,1]
	v_accvgpr_read_b32 v7, a43
	v_mov_b32_e32 v131, v1
	v_pk_fma_f32 v[6:7], v[58:59], s[14:15], v[6:7] neg_lo:[0,0,1] neg_hi:[0,0,1]
	v_pk_add_f32 v[0:1], v[32:33], v[50:51]
	v_pk_add_f32 v[2:3], v[32:33], v[182:183]
	;; [unrolled: 1-line block ×3, first 2 shown]
	v_mov_b32_e32 v187, v129
	v_mov_b32_e32 v129, v63
	v_mov_b32_e32 v63, v7
	v_mov_b32_e32 v36, v34
	v_mov_b32_e32 v189, v133
	v_mov_b32_e32 v199, v181
	v_pk_add_f32 v[2:3], v[174:175], v[2:3]
	v_mov_b32_e32 v181, v127
	v_mov_b32_e32 v133, v121
	v_pk_add_f32 v[4:5], v[62:63], v[4:5]
	v_mov_b32_e32 v121, v21
	v_mov_b32_e32 v34, v38
	v_pk_add_f32 v[0:1], v[36:37], v[0:1]
	v_mov_b32_e32 v191, v139
	v_pk_add_f32 v[2:3], v[180:181], v[2:3]
	;; [unrolled: 2-line block ×3, first 2 shown]
	v_mov_b32_e32 v125, v27
	v_accvgpr_read_b32 v38, a36
	v_pk_add_f32 v[0:1], v[34:35], v[0:1]
	v_pk_add_f32 v[2:3], v[186:187], v[2:3]
	v_mov_b32_e32 v127, v31
	v_pk_add_f32 v[4:5], v[124:125], v[4:5]
	v_mov_b32_e32 v42, v44
	v_pk_add_f32 v[0:1], v[38:39], v[0:1]
	v_pk_add_f32 v[2:3], v[188:189], v[2:3]
	v_pk_add_f32 v[4:5], v[126:127], v[4:5]
	v_mov_b32_e32 v44, v48
	v_pk_add_f32 v[0:1], v[42:43], v[0:1]
	v_pk_add_f32 v[2:3], v[190:191], v[2:3]
	;; [unrolled: 4-line block ×3, first 2 shown]
	v_pk_add_f32 v[4:5], v[132:133], v[4:5]
	v_accvgpr_read_b32 v52, a38
	v_pk_add_f32 v[0:1], v[48:49], v[0:1]
	v_pk_add_f32 v[2:3], v[198:199], v[2:3]
	;; [unrolled: 1-line block ×4, first 2 shown]
	ds_write2_b64 v12, v[2:3], v[4:5] offset0:238 offset1:255
	ds_write_b64 v12, v[64:65] offset:2176
	s_waitcnt lgkmcnt(0)
	s_barrier
	v_add_u32_e32 v67, 0xc00, v172
	ds_read2_b64 v[60:63], v173 offset0:33 offset1:67
	ds_read2_b64 v[56:59], v173 offset0:101 offset1:135
	;; [unrolled: 1-line block ×3, first 2 shown]
	ds_read2_b64 v[48:51], v172 offset1:34
	ds_read2_b64 v[44:47], v172 offset0:68 offset1:102
	ds_read2_b64 v[40:43], v172 offset0:136 offset1:170
	;; [unrolled: 1-line block ×4, first 2 shown]
	s_load_dwordx2 s[2:3], s[0:1], 0x38
	v_accvgpr_write_b32 a56, v20
	v_accvgpr_write_b32 a55, v19
	;; [unrolled: 1-line block ×4, first 2 shown]
	v_mov_b32_e32 v18, v212
	v_accvgpr_write_b32 a42, v230
	v_accvgpr_read_b32 v7, a104             ;  Reload Reuse
	v_accvgpr_write_b32 a51, v235
	v_mov_b32_e32 v19, v213
	v_accvgpr_write_b32 a43, v231
	v_accvgpr_write_b32 a62, v215
	;; [unrolled: 1-line block ×4, first 2 shown]
	v_accvgpr_read_b32 v6, a106             ;  Reload Reuse
	v_accvgpr_write_b32 a52, v236
	v_mov_b32_e32 v20, v214
	v_accvgpr_write_b32 a44, v232
	v_accvgpr_write_b32 a36, v12
	v_accvgpr_mov_b32 a94, a55
	v_accvgpr_mov_b32 a92, a43
	v_accvgpr_write_b32 a90, v15
	v_accvgpr_write_b32 a96, v29
	;; [unrolled: 1-line block ×3, first 2 shown]
	v_accvgpr_mov_b32 a100, a51
	v_accvgpr_write_b32 a102, v19
                                        ; implicit-def: $vgpr68
                                        ; implicit-def: $vgpr70
	s_and_saveexec_b64 s[0:1], vcc
	s_cbranch_execz .LBB0_3
; %bb.2:
	ds_read_b64 v[68:69], v172 offset:4488
	ds_read_b64 v[64:65], v172 offset:2176
	s_mov_b64 s[12:13], 0x110
	v_lshl_add_u64 v[118:119], v[6:7], 0, s[12:13]
	s_waitcnt lgkmcnt(0)
	v_mov_b32_e32 v70, v69
.LBB0_3:
	s_or_b64 exec, exec, s[0:1]
	v_lshlrev_b32_e32 v66, 3, v6
	global_load_dwordx2 v[78:79], v66, s[10:11] offset:2448
	global_load_dwordx2 v[76:77], v66, s[10:11] offset:2720
	v_lshl_add_u64 v[0:1], v[118:119], 3, s[10:11]
	global_load_dwordx2 v[74:75], v[0:1], off offset:2176
	global_load_dwordx2 v[86:87], v66, s[10:11] offset:2176
	global_load_dwordx2 v[84:85], v66, s[10:11] offset:2992
	;; [unrolled: 1-line block ×4, first 2 shown]
	v_mov_b32_e32 v15, v14
	v_accvgpr_write_b32 a41, v17
	v_accvgpr_write_b32 a40, v16
	;; [unrolled: 1-line block ×4, first 2 shown]
	global_load_dwordx2 v[14:15], v66, s[10:11] offset:3808
	global_load_dwordx2 v[16:17], v66, s[10:11] offset:4080
	v_lshl_add_u32 v12, v6, 3, v13
	v_accvgpr_read_b32 v22, a62
	v_accvgpr_read_b32 v23, a62
	v_accvgpr_mov_b32 a67, a66
	v_accvgpr_mov_b32 a62, a66
	;; [unrolled: 1-line block ×6, first 2 shown]
	v_mov_b32_e32 v19, v18
	v_accvgpr_mov_b32 a103, a102
	v_mov_b32_e32 v21, v20
	v_accvgpr_mov_b32 a51, a50
	v_accvgpr_mov_b32 a101, a100
	v_accvgpr_mov_b32 a53, a52
	v_accvgpr_mov_b32 a69, a68
	v_accvgpr_mov_b32 a43, a42
	v_accvgpr_mov_b32 a93, a92
	v_accvgpr_mov_b32 a45, a44
	v_accvgpr_mov_b32 a59, a58
	v_accvgpr_mov_b32 a55, a54
	v_accvgpr_mov_b32 a95, a94
	v_accvgpr_mov_b32 a57, a56
	v_accvgpr_mov_b32 a61, a60
	v_mov_b32_e32 v25, v24
	v_accvgpr_mov_b32 a99, a98
	v_mov_b32_e32 v27, v26
	v_mov_b32_e32 v29, v28
	v_accvgpr_mov_b32 a97, a96
	v_mov_b32_e32 v31, v30
	v_accvgpr_mov_b32 a71, a70
	v_accvgpr_write_b32 a37, v12
	s_waitcnt vmcnt(6)
	v_pk_mul_f32 v[0:1], v[70:71], v[74:75] op_sel_hi:[0,1]
	v_pk_fma_f32 v[72:73], v[68:69], v[74:75], v[0:1] op_sel:[0,0,1] op_sel_hi:[1,1,0] neg_lo:[0,0,1] neg_hi:[0,0,1]
	v_pk_fma_f32 v[0:1], v[68:69], v[74:75], v[0:1] op_sel:[0,0,1] op_sel_hi:[0,1,0]
	s_waitcnt vmcnt(5) lgkmcnt(0)
	v_pk_mul_f32 v[2:3], v[60:61], v[86:87] op_sel:[0,1]
	v_pk_mul_f32 v[4:5], v[62:63], v[78:79] op_sel:[0,1]
	v_mov_b32_e32 v73, v1
	v_pk_mul_f32 v[6:7], v[56:57], v[76:77] op_sel:[0,1]
	s_waitcnt vmcnt(4)
	v_pk_mul_f32 v[8:9], v[58:59], v[84:85] op_sel:[0,1]
	s_waitcnt vmcnt(3)
	v_pk_mul_f32 v[10:11], v[52:53], v[82:83] op_sel:[0,1]
	v_pk_fma_f32 v[68:69], v[60:61], v[86:87], v[2:3] op_sel:[0,0,1] op_sel_hi:[1,1,0] neg_lo:[0,0,1] neg_hi:[0,0,1]
	v_pk_fma_f32 v[2:3], v[60:61], v[86:87], v[2:3] op_sel:[0,0,1] op_sel_hi:[1,0,0]
	v_pk_fma_f32 v[60:61], v[62:63], v[78:79], v[4:5] op_sel:[0,0,1] op_sel_hi:[1,1,0] neg_lo:[0,0,1] neg_hi:[0,0,1]
	v_pk_fma_f32 v[4:5], v[62:63], v[78:79], v[4:5] op_sel:[0,0,1] op_sel_hi:[1,0,0]
	v_pk_add_f32 v[0:1], v[64:65], v[72:73] neg_lo:[0,1] neg_hi:[0,1]
	s_waitcnt vmcnt(2)
	v_pk_mul_f32 v[70:71], v[54:55], v[80:81] op_sel:[0,1]
	v_pk_fma_f32 v[62:63], v[56:57], v[76:77], v[6:7] op_sel:[0,0,1] op_sel_hi:[1,1,0] neg_lo:[0,0,1] neg_hi:[0,0,1]
	v_pk_fma_f32 v[6:7], v[56:57], v[76:77], v[6:7] op_sel:[0,0,1] op_sel_hi:[1,0,0]
	v_pk_fma_f32 v[56:57], v[58:59], v[84:85], v[8:9] op_sel:[0,0,1] op_sel_hi:[1,1,0] neg_lo:[0,0,1] neg_hi:[0,0,1]
	v_pk_fma_f32 v[8:9], v[58:59], v[84:85], v[8:9] op_sel:[0,0,1] op_sel_hi:[1,0,0]
	;; [unrolled: 2-line block ×3, first 2 shown]
	v_mov_b32_e32 v69, v3
	v_mov_b32_e32 v61, v5
	v_accvgpr_write_b32 a89, v1
	v_pk_fma_f32 v[52:53], v[54:55], v[80:81], v[70:71] op_sel:[0,0,1] op_sel_hi:[1,1,0] neg_lo:[0,0,1] neg_hi:[0,0,1]
	v_pk_fma_f32 v[54:55], v[54:55], v[80:81], v[70:71] op_sel:[0,0,1] op_sel_hi:[1,0,0]
	v_mov_b32_e32 v63, v7
	v_mov_b32_e32 v57, v9
	;; [unrolled: 1-line block ×3, first 2 shown]
	v_accvgpr_write_b32 a88, v0
	v_pk_add_f32 v[0:1], v[48:49], v[68:69] neg_lo:[0,1] neg_hi:[0,1]
	v_pk_add_f32 v[2:3], v[50:51], v[60:61] neg_lo:[0,1] neg_hi:[0,1]
	;; [unrolled: 1-line block ×5, first 2 shown]
	v_pk_fma_f32 v[10:11], v[48:49], 2.0, v[0:1] op_sel_hi:[1,0,1] neg_lo:[0,0,1] neg_hi:[0,0,1]
	ds_write_b64 v12, v[0:1] offset:2312
	v_pk_fma_f32 v[0:1], v[50:51], 2.0, v[2:3] op_sel_hi:[1,0,1] neg_lo:[0,0,1] neg_hi:[0,0,1]
	v_mov_b32_e32 v53, v55
	v_pk_fma_f32 v[44:45], v[44:45], 2.0, v[4:5] op_sel_hi:[1,0,1] neg_lo:[0,0,1] neg_hi:[0,0,1]
	v_pk_fma_f32 v[46:47], v[46:47], 2.0, v[6:7] op_sel_hi:[1,0,1] neg_lo:[0,0,1] neg_hi:[0,0,1]
	;; [unrolled: 1-line block ×3, first 2 shown]
	ds_write2_b64 v172, v[10:11], v[0:1] offset1:34
	ds_write_b64 v12, v[2:3] offset:2584
	ds_write_b64 v172, v[44:45] offset:544
	;; [unrolled: 1-line block ×7, first 2 shown]
	v_pk_add_f32 v[0:1], v[42:43], v[52:53] neg_lo:[0,1] neg_hi:[0,1]
	s_waitcnt vmcnt(0)
	v_pk_mul_f32 v[4:5], v[38:39], v[16:17] op_sel:[0,1]
	v_pk_fma_f32 v[2:3], v[42:43], 2.0, v[0:1] op_sel_hi:[1,0,1] neg_lo:[0,0,1] neg_hi:[0,0,1]
	ds_write_b64 v172, v[2:3] offset:1360
	ds_write_b64 v12, v[0:1] offset:3672
	v_pk_mul_f32 v[0:1], v[36:37], v[14:15] op_sel:[0,1]
	v_pk_fma_f32 v[6:7], v[38:39], v[16:17], v[4:5] op_sel:[0,0,1] op_sel_hi:[1,1,0] neg_lo:[0,0,1] neg_hi:[0,0,1]
	v_pk_fma_f32 v[2:3], v[36:37], v[14:15], v[0:1] op_sel:[0,0,1] op_sel_hi:[1,1,0] neg_lo:[0,0,1] neg_hi:[0,0,1]
	v_pk_fma_f32 v[0:1], v[36:37], v[14:15], v[0:1] op_sel:[0,0,1] op_sel_hi:[1,0,0]
	v_pk_fma_f32 v[4:5], v[38:39], v[16:17], v[4:5] op_sel:[0,0,1] op_sel_hi:[1,0,0]
	v_mov_b32_e32 v3, v1
	v_mov_b32_e32 v7, v5
	v_accvgpr_write_b32 a66, v74
	v_accvgpr_write_b32 a82, v86
	;; [unrolled: 1-line block ×8, first 2 shown]
	v_pk_add_f32 v[0:1], v[32:33], v[2:3] neg_lo:[0,1] neg_hi:[0,1]
	v_accvgpr_write_b32 a87, v17
	v_pk_add_f32 v[4:5], v[34:35], v[6:7] neg_lo:[0,1] neg_hi:[0,1]
	v_accvgpr_write_b32 a67, v75
	v_accvgpr_write_b32 a83, v87
	;; [unrolled: 1-line block ×8, first 2 shown]
	v_pk_fma_f32 v[2:3], v[32:33], 2.0, v[0:1] op_sel_hi:[1,0,1] neg_lo:[0,0,1] neg_hi:[0,0,1]
	v_accvgpr_write_b32 a86, v16
	v_pk_fma_f32 v[6:7], v[34:35], 2.0, v[4:5] op_sel_hi:[1,0,1] neg_lo:[0,0,1] neg_hi:[0,0,1]
	ds_write2_b64 v172, v[2:3], v[6:7] offset0:204 offset1:238
	ds_write2_b64 v67, v[0:1], v[4:5] offset0:109 offset1:143
	s_and_saveexec_b64 s[0:1], vcc
	s_cbranch_execz .LBB0_5
; %bb.4:
	v_accvgpr_read_b32 v2, a88
	v_accvgpr_read_b32 v3, a89
	v_pk_fma_f32 v[0:1], v[64:65], 2.0, v[2:3] op_sel_hi:[1,0,1] neg_lo:[0,0,1] neg_hi:[0,0,1]
	ds_write_b64 v172, v[0:1] offset:2176
	v_accvgpr_read_b32 v0, a37
	ds_write_b64 v0, a[88:89] offset:4488
.LBB0_5:
	s_or_b64 exec, exec, s[0:1]
	v_mov_b32_e32 v67, 0
	v_lshl_add_u64 v[0:1], s[8:9], 0, v[66:67]
	s_movk_i32 s0, 0x1000
	v_add_co_u32_e64 v2, s[0:1], s0, v0
	s_waitcnt lgkmcnt(0)
	s_nop 0
	v_addc_co_u32_e64 v3, s[0:1], 0, v1, s[0:1]
	s_barrier
	global_load_dwordx2 v[2:3], v[2:3], off offset:528
	s_mov_b64 s[8:9], 0x1210
	v_lshl_add_u64 v[4:5], v[0:1], 0, s[8:9]
	global_load_dwordx2 v[6:7], v[4:5], off offset:272
	global_load_dwordx2 v[8:9], v[4:5], off offset:544
	global_load_dwordx2 v[10:11], v[4:5], off offset:816
	global_load_dwordx2 v[56:57], v[4:5], off offset:1088
	global_load_dwordx2 v[58:59], v[4:5], off offset:1360
	global_load_dwordx2 v[60:61], v[4:5], off offset:1632
	global_load_dwordx2 v[62:63], v[4:5], off offset:1904
	global_load_dwordx2 v[64:65], v[4:5], off offset:2176
	global_load_dwordx2 v[66:67], v[4:5], off offset:2448
	global_load_dwordx2 v[68:69], v[4:5], off offset:2720
	global_load_dwordx2 v[70:71], v[4:5], off offset:2992
	global_load_dwordx2 v[72:73], v[4:5], off offset:3264
	global_load_dwordx2 v[74:75], v[4:5], off offset:3536
	global_load_dwordx2 v[76:77], v[4:5], off offset:3808
	s_movk_i32 s0, 0x2000
	ds_read2_b64 v[32:35], v172 offset1:34
	ds_read2_b64 v[36:39], v172 offset0:68 offset1:102
	ds_read2_b64 v[40:43], v172 offset0:136 offset1:170
	global_load_dwordx2 v[4:5], v[4:5], off offset:4080
	v_add_co_u32_e64 v0, s[0:1], s0, v0
	ds_read2_b64 v[44:47], v172 offset0:204 offset1:238
	s_nop 0
	v_addc_co_u32_e64 v1, s[0:1], 0, v1, s[0:1]
	global_load_dwordx2 v[0:1], v[0:1], off offset:784
	v_add_u32_e32 v173, 0x800, v172
	ds_read2_b64 v[48:51], v173 offset0:16 offset1:50
	ds_read2_b64 v[52:55], v173 offset0:84 offset1:118
	s_mov_b32 s26, 0xbeb8f4ab
	s_mov_b32 s0, 0x3f6eb680
	s_mov_b32 s40, 0xbf2c7751
	s_mov_b32 s8, 0x3f3d2fb0
	s_mov_b32 s44, 0xbf65296c
	s_mov_b32 s14, 0x3ee437d1
	s_mov_b32 s34, 0xbf7ee86f
	s_mov_b32 s12, 0x3dbcf732
	s_mov_b32 s22, 0xbf763a35
	s_mov_b32 s10, 0xbe8c1d8e
	s_mov_b32 s24, 0xbf4c4adb
	s_mov_b32 s18, 0xbf1a4643
	s_mov_b32 s28, 0xbf06c442
	s_mov_b32 s16, 0xbf59a7d5
	s_mov_b32 s30, 0xbe3c28d5
	s_mov_b32 s20, 0xbf7ba420
	s_mov_b32 s50, 0x3f06c442
	s_mov_b32 s48, 0x3f763a35
	s_mov_b32 s38, 0x3eb8f4ab
	s_mov_b32 s54, 0x3e3c28d5
	s_mov_b32 s42, 0x3f2c7751
	s_mov_b32 s52, 0x3f4c4adb
	s_mov_b32 s46, 0x3f7ee86f
	s_mov_b32 s60, s10
	s_mov_b32 s61, s22
	s_mov_b32 s58, s16
	s_mov_b32 s59, s50
	s_mov_b32 s56, s14
	s_mov_b32 s57, s36
	s_mov_b32 s62, s0
	s_mov_b32 s63, s26
	s_mov_b32 s64, s12
	s_mov_b32 s65, s46
	s_waitcnt vmcnt(15) lgkmcnt(5)
	v_mul_f32_e32 v13, v35, v7
	s_waitcnt vmcnt(14) lgkmcnt(4)
	v_mul_f32_e32 v14, v37, v9
	s_waitcnt vmcnt(13)
	v_mul_f32_e32 v15, v39, v11
	s_waitcnt vmcnt(12) lgkmcnt(3)
	v_mul_f32_e32 v80, v41, v57
	s_waitcnt vmcnt(11)
	;; [unrolled: 4-line block ×4, first 2 shown]
	v_mul_f32_e32 v85, v51, v67
	v_mul_f32_e32 v12, v33, v3
	;; [unrolled: 1-line block ×12, first 2 shown]
	v_fma_f32 v78, v32, v2, -v12
	v_fmac_f32_e32 v79, v33, v2
	v_fma_f32 v2, v34, v6, -v13
	v_fmac_f32_e32 v3, v35, v6
	;; [unrolled: 2-line block ×10, first 2 shown]
	ds_write2_b64 v172, v[78:79], v[2:3] offset1:34
	ds_write2_b64 v172, v[6:7], v[8:9] offset0:68 offset1:102
	ds_write2_b64 v172, v[10:11], v[56:57] offset0:136 offset1:170
	;; [unrolled: 1-line block ×4, first 2 shown]
	ds_read2_b64 v[32:35], v173 offset0:152 offset1:186
	s_waitcnt vmcnt(6) lgkmcnt(6)
	v_mul_f32_e32 v2, v53, v69
	v_mul_f32_e32 v3, v52, v69
	s_waitcnt vmcnt(5)
	v_mul_f32_e32 v6, v55, v71
	v_mul_f32_e32 v7, v54, v71
	v_fma_f32 v2, v52, v68, -v2
	v_fmac_f32_e32 v3, v53, v68
	v_fma_f32 v6, v54, v70, -v6
	v_fmac_f32_e32 v7, v55, v70
	ds_write2_b64 v173, v[2:3], v[6:7] offset0:84 offset1:118
	s_waitcnt vmcnt(4) lgkmcnt(1)
	v_mul_f32_e32 v2, v33, v73
	v_mul_f32_e32 v3, v32, v73
	s_waitcnt vmcnt(3)
	v_mul_f32_e32 v6, v35, v75
	ds_read2_b64 v[36:39], v173 offset0:220 offset1:254
	v_mul_f32_e32 v7, v34, v75
	v_fma_f32 v2, v32, v72, -v2
	v_fmac_f32_e32 v3, v33, v72
	v_fma_f32 v6, v34, v74, -v6
	v_fmac_f32_e32 v7, v35, v74
	ds_write2_b64 v173, v[2:3], v[6:7] offset0:152 offset1:186
	ds_read_b64 v[6:7], v172 offset:4352
	s_waitcnt vmcnt(2) lgkmcnt(2)
	v_mul_f32_e32 v2, v37, v77
	v_mul_f32_e32 v3, v36, v77
	s_waitcnt vmcnt(1)
	v_mul_f32_e32 v8, v39, v5
	v_mul_f32_e32 v9, v38, v5
	v_fma_f32 v2, v36, v76, -v2
	v_fmac_f32_e32 v3, v37, v76
	v_fma_f32 v8, v38, v4, -v8
	v_fmac_f32_e32 v9, v39, v4
	ds_write2_b64 v173, v[2:3], v[8:9] offset0:220 offset1:254
	s_waitcnt vmcnt(0) lgkmcnt(1)
	v_mul_f32_e32 v2, v7, v1
	v_mul_f32_e32 v3, v6, v1
	v_fma_f32 v2, v6, v0, -v2
	v_fmac_f32_e32 v3, v7, v0
	ds_write_b64 v172, v[2:3] offset:4352
	s_waitcnt lgkmcnt(0)
	s_barrier
	ds_read2_b64 v[32:35], v172 offset1:34
	ds_read2_b64 v[58:61], v172 offset0:204 offset1:238
	ds_read2_b64 v[64:67], v173 offset0:16 offset1:50
	;; [unrolled: 1-line block ×7, first 2 shown]
	ds_read_b64 v[0:1], v172 offset:4352
	s_waitcnt lgkmcnt(8)
	v_pk_add_f32 v[2:3], v[32:33], v[34:35]
	s_waitcnt lgkmcnt(5)
	v_pk_add_f32 v[238:239], v[58:59], v[70:71] neg_lo:[0,1] neg_hi:[0,1]
	s_waitcnt lgkmcnt(3)
	v_pk_add_f32 v[2:3], v[2:3], v[40:41]
	s_waitcnt lgkmcnt(2)
	v_pk_add_f32 v[222:223], v[40:41], v[46:47] neg_lo:[0,1] neg_hi:[0,1]
	v_pk_add_f32 v[2:3], v[2:3], v[42:43]
	s_waitcnt lgkmcnt(0)
	v_pk_add_f32 v[218:219], v[34:35], v[0:1] neg_lo:[0,1] neg_hi:[0,1]
	v_pk_add_f32 v[2:3], v[2:3], v[54:55]
	v_pk_add_f32 v[216:217], v[0:1], v[34:35]
	;; [unrolled: 1-line block ×5, first 2 shown]
	v_pk_mul_f32 v[4:5], v[222:223], s[40:41] op_sel_hi:[1,0]
	v_pk_add_f32 v[2:3], v[2:3], v[60:61]
	v_pk_fma_f32 v[6:7], v[220:221], s[8:9], v[4:5] op_sel:[0,0,1] op_sel_hi:[1,0,0]
	v_pk_add_f32 v[2:3], v[2:3], v[64:65]
	v_pk_fma_f32 v[40:41], v[220:221], s[8:9], v[4:5] op_sel:[0,0,1] op_sel_hi:[1,0,0] neg_lo:[0,0,1] neg_hi:[0,0,1]
	v_pk_add_f32 v[2:3], v[2:3], v[66:67]
	v_mov_b32_e32 v4, v6
	v_pk_add_f32 v[2:3], v[2:3], v[68:69]
	v_mov_b32_e32 v5, v41
	v_pk_add_f32 v[2:3], v[2:3], v[70:71]
	v_pk_add_f32 v[226:227], v[42:43], v[44:45] neg_lo:[0,1] neg_hi:[0,1]
	v_pk_add_f32 v[2:3], v[2:3], v[50:51]
	v_pk_add_f32 v[224:225], v[44:45], v[42:43]
	;; [unrolled: 1-line block ×3, first 2 shown]
	v_accvgpr_write_b32 a105, v7
	v_pk_add_f32 v[2:3], v[2:3], v[44:45]
	v_pk_add_f32 v[230:231], v[54:55], v[52:53] neg_lo:[0,1] neg_hi:[0,1]
	v_pk_add_f32 v[2:3], v[2:3], v[46:47]
	v_pk_add_f32 v[228:229], v[52:53], v[54:55]
	;; [unrolled: 1-line block ×3, first 2 shown]
	v_pk_mul_f32 v[0:1], v[218:219], s[26:27] op_sel_hi:[1,0]
	v_pk_add_f32 v[234:235], v[56:57], v[50:51] neg_lo:[0,1] neg_hi:[0,1]
	v_pk_fma_f32 v[16:17], v[216:217], s[0:1], v[0:1] op_sel:[0,0,1] op_sel_hi:[1,0,0]
	v_pk_fma_f32 v[36:37], v[216:217], s[0:1], v[0:1] op_sel:[0,0,1] op_sel_hi:[1,0,0] neg_lo:[0,0,1] neg_hi:[0,0,1]
	v_mov_b32_e32 v0, v16
	v_mov_b32_e32 v1, v37
	v_pk_add_f32 v[0:1], v[32:33], v[0:1]
	v_pk_add_f32 v[232:233], v[50:51], v[56:57]
	;; [unrolled: 1-line block ×3, first 2 shown]
	v_pk_mul_f32 v[4:5], v[226:227], s[44:45] op_sel_hi:[1,0]
	v_pk_add_f32 v[236:237], v[70:71], v[58:59]
	v_pk_fma_f32 v[6:7], v[224:225], s[14:15], v[4:5] op_sel:[0,0,1] op_sel_hi:[1,0,0]
	v_pk_fma_f32 v[44:45], v[224:225], s[14:15], v[4:5] op_sel:[0,0,1] op_sel_hi:[1,0,0] neg_lo:[0,0,1] neg_hi:[0,0,1]
	v_mov_b32_e32 v4, v6
	v_mov_b32_e32 v5, v45
	v_pk_add_f32 v[0:1], v[4:5], v[0:1]
	v_pk_mul_f32 v[4:5], v[230:231], s[34:35] op_sel_hi:[1,0]
	v_accvgpr_write_b32 a107, v7
	v_pk_fma_f32 v[6:7], v[228:229], s[12:13], v[4:5] op_sel:[0,0,1] op_sel_hi:[1,0,0]
	v_pk_fma_f32 v[48:49], v[228:229], s[12:13], v[4:5] op_sel:[0,0,1] op_sel_hi:[1,0,0] neg_lo:[0,0,1] neg_hi:[0,0,1]
	v_mov_b32_e32 v4, v6
	v_mov_b32_e32 v5, v49
	v_pk_add_f32 v[0:1], v[4:5], v[0:1]
	v_pk_mul_f32 v[4:5], v[234:235], s[22:23] op_sel_hi:[1,0]
	v_accvgpr_write_b32 a109, v7
	;; [unrolled: 7-line block ×3, first 2 shown]
	v_pk_fma_f32 v[6:7], v[236:237], s[18:19], v[4:5] op_sel:[0,0,1] op_sel_hi:[1,0,0]
	v_pk_fma_f32 v[58:59], v[236:237], s[18:19], v[4:5] op_sel:[0,0,1] op_sel_hi:[1,0,0] neg_lo:[0,0,1] neg_hi:[0,0,1]
	v_mov_b32_e32 v4, v6
	v_mov_b32_e32 v5, v59
	v_pk_add_f32 v[242:243], v[60:61], v[68:69] neg_lo:[0,1] neg_hi:[0,1]
	v_pk_add_f32 v[0:1], v[4:5], v[0:1]
	v_pk_add_f32 v[240:241], v[68:69], v[60:61]
	v_pk_mul_f32 v[4:5], v[242:243], s[28:29] op_sel_hi:[1,0]
	v_accvgpr_write_b32 a113, v7
	v_pk_fma_f32 v[6:7], v[240:241], s[16:17], v[4:5] op_sel:[0,0,1] op_sel_hi:[1,0,0]
	v_pk_fma_f32 v[62:63], v[240:241], s[16:17], v[4:5] op_sel:[0,0,1] op_sel_hi:[1,0,0] neg_lo:[0,0,1] neg_hi:[0,0,1]
	v_mov_b32_e32 v4, v6
	v_mov_b32_e32 v5, v63
	v_pk_add_f32 v[246:247], v[64:65], v[66:67] neg_lo:[0,1] neg_hi:[0,1]
	v_pk_add_f32 v[0:1], v[4:5], v[0:1]
	v_pk_add_f32 v[244:245], v[66:67], v[64:65]
	v_pk_mul_f32 v[4:5], v[246:247], s[30:31] op_sel_hi:[1,0]
	v_accvgpr_write_b32 a115, v7
	v_pk_fma_f32 v[6:7], v[244:245], s[20:21], v[4:5] op_sel:[0,0,1] op_sel_hi:[1,0,0]
	v_pk_fma_f32 v[150:151], v[244:245], s[20:21], v[4:5] op_sel:[0,0,1] op_sel_hi:[1,0,0] neg_lo:[0,0,1] neg_hi:[0,0,1]
	v_mov_b32_e32 v4, v6
	v_mov_b32_e32 v5, v151
	v_pk_add_f32 v[0:1], v[4:5], v[0:1]
	v_accvgpr_read_b32 v16, a17
	s_barrier
	ds_write2_b64 v16, v[2:3], v[0:1] offset1:1
	v_pk_mul_f32 v[0:1], v[218:219], s[40:41] op_sel_hi:[1,0]
	v_accvgpr_write_b32 a117, v7
	v_pk_fma_f32 v[2:3], v[216:217], s[8:9], v[0:1] op_sel:[0,0,1] op_sel_hi:[1,0,0]
	v_pk_fma_f32 v[154:155], v[216:217], s[8:9], v[0:1] op_sel:[0,0,1] op_sel_hi:[1,0,0] neg_lo:[0,0,1] neg_hi:[0,0,1]
	v_mov_b32_e32 v0, v2
	v_mov_b32_e32 v37, v3
	v_pk_mul_f32 v[2:3], v[222:223], s[34:35] op_sel_hi:[1,0]
	v_mov_b32_e32 v1, v155
	v_pk_fma_f32 v[4:5], v[220:221], s[12:13], v[2:3] op_sel:[0,0,1] op_sel_hi:[1,0,0]
	v_pk_fma_f32 v[158:159], v[220:221], s[12:13], v[2:3] op_sel:[0,0,1] op_sel_hi:[1,0,0] neg_lo:[0,0,1] neg_hi:[0,0,1]
	v_pk_add_f32 v[0:1], v[32:33], v[0:1]
	v_mov_b32_e32 v2, v4
	v_mov_b32_e32 v3, v159
	v_pk_add_f32 v[0:1], v[2:3], v[0:1]
	v_pk_mul_f32 v[2:3], v[226:227], s[24:25] op_sel_hi:[1,0]
	v_mov_b32_e32 v41, v5
	v_pk_fma_f32 v[4:5], v[224:225], s[18:19], v[2:3] op_sel:[0,0,1] op_sel_hi:[1,0,0]
	v_pk_fma_f32 v[162:163], v[224:225], s[18:19], v[2:3] op_sel:[0,0,1] op_sel_hi:[1,0,0] neg_lo:[0,0,1] neg_hi:[0,0,1]
	v_mov_b32_e32 v2, v4
	v_mov_b32_e32 v3, v163
	v_pk_add_f32 v[0:1], v[2:3], v[0:1]
	v_pk_mul_f32 v[2:3], v[230:231], s[30:31] op_sel_hi:[1,0]
	v_mov_b32_e32 v45, v5
	v_pk_fma_f32 v[4:5], v[228:229], s[20:21], v[2:3] op_sel:[0,0,1] op_sel_hi:[1,0,0]
	v_pk_fma_f32 v[166:167], v[228:229], s[20:21], v[2:3] op_sel:[0,0,1] op_sel_hi:[1,0,0] neg_lo:[0,0,1] neg_hi:[0,0,1]
	;; [unrolled: 7-line block ×5, first 2 shown]
	v_mov_b32_e32 v2, v60
	v_mov_b32_e32 v3, v179
	v_pk_add_f32 v[0:1], v[2:3], v[0:1]
	v_pk_mul_f32 v[2:3], v[246:247], s[38:39] op_sel_hi:[1,0]
	v_pk_mul_f32 v[4:5], v[222:223], s[24:25] op_sel_hi:[1,0]
	v_pk_fma_f32 v[56:57], v[244:245], s[0:1], v[2:3] op_sel:[0,0,1] op_sel_hi:[1,0,0]
	v_pk_fma_f32 v[182:183], v[244:245], s[0:1], v[2:3] op_sel:[0,0,1] op_sel_hi:[1,0,0] neg_lo:[0,0,1] neg_hi:[0,0,1]
	v_mov_b32_e32 v2, v56
	v_mov_b32_e32 v3, v183
	v_pk_add_f32 v[0:1], v[2:3], v[0:1]
	v_pk_mul_f32 v[2:3], v[218:219], s[44:45] op_sel_hi:[1,0]
	v_pk_fma_f32 v[188:189], v[220:221], s[18:19], v[4:5] op_sel:[0,0,1] op_sel_hi:[1,0,0]
	v_pk_fma_f32 v[184:185], v[216:217], s[14:15], v[2:3] op_sel:[0,0,1] op_sel_hi:[1,0,0]
	v_pk_fma_f32 v[186:187], v[216:217], s[14:15], v[2:3] op_sel:[0,0,1] op_sel_hi:[1,0,0] neg_lo:[0,0,1] neg_hi:[0,0,1]
	v_mov_b32_e32 v2, v184
	v_mov_b32_e32 v3, v187
	v_pk_fma_f32 v[190:191], v[220:221], s[18:19], v[4:5] op_sel:[0,0,1] op_sel_hi:[1,0,0] neg_lo:[0,0,1] neg_hi:[0,0,1]
	v_pk_add_f32 v[2:3], v[32:33], v[2:3]
	v_mov_b32_e32 v4, v188
	v_mov_b32_e32 v5, v191
	v_pk_add_f32 v[2:3], v[4:5], v[2:3]
	v_pk_mul_f32 v[4:5], v[226:227], s[54:55] op_sel_hi:[1,0]
	v_pk_mul_f32 v[6:7], v[222:223], s[48:49] op_sel_hi:[1,0]
	v_pk_fma_f32 v[192:193], v[224:225], s[20:21], v[4:5] op_sel:[0,0,1] op_sel_hi:[1,0,0]
	v_pk_fma_f32 v[194:195], v[224:225], s[20:21], v[4:5] op_sel:[0,0,1] op_sel_hi:[1,0,0] neg_lo:[0,0,1] neg_hi:[0,0,1]
	v_mov_b32_e32 v4, v192
	v_mov_b32_e32 v5, v195
	v_pk_add_f32 v[2:3], v[4:5], v[2:3]
	v_pk_mul_f32 v[4:5], v[230:231], s[48:49] op_sel_hi:[1,0]
	v_pk_fma_f32 v[8:9], v[220:221], s[10:11], v[6:7] op_sel:[0,0,1] op_sel_hi:[1,0,0]
	v_pk_fma_f32 v[196:197], v[228:229], s[10:11], v[4:5] op_sel:[0,0,1] op_sel_hi:[1,0,0]
	v_pk_fma_f32 v[198:199], v[228:229], s[10:11], v[4:5] op_sel:[0,0,1] op_sel_hi:[1,0,0] neg_lo:[0,0,1] neg_hi:[0,0,1]
	v_mov_b32_e32 v4, v196
	v_mov_b32_e32 v5, v199
	v_pk_add_f32 v[2:3], v[4:5], v[2:3]
	v_pk_mul_f32 v[4:5], v[234:235], s[42:43] op_sel_hi:[1,0]
	v_pk_fma_f32 v[6:7], v[220:221], s[10:11], v[6:7] op_sel:[0,0,1] op_sel_hi:[1,0,0] neg_lo:[0,0,1] neg_hi:[0,0,1]
	v_pk_fma_f32 v[200:201], v[232:233], s[8:9], v[4:5] op_sel:[0,0,1] op_sel_hi:[1,0,0]
	v_pk_fma_f32 v[202:203], v[232:233], s[8:9], v[4:5] op_sel:[0,0,1] op_sel_hi:[1,0,0] neg_lo:[0,0,1] neg_hi:[0,0,1]
	v_mov_b32_e32 v4, v200
	v_mov_b32_e32 v5, v203
	v_pk_add_f32 v[2:3], v[4:5], v[2:3]
	v_pk_mul_f32 v[4:5], v[238:239], s[26:27] op_sel_hi:[1,0]
	v_mov_b32_e32 v10, v8
	v_pk_fma_f32 v[204:205], v[236:237], s[0:1], v[4:5] op_sel:[0,0,1] op_sel_hi:[1,0,0]
	v_pk_fma_f32 v[206:207], v[236:237], s[0:1], v[4:5] op_sel:[0,0,1] op_sel_hi:[1,0,0] neg_lo:[0,0,1] neg_hi:[0,0,1]
	v_mov_b32_e32 v4, v204
	v_mov_b32_e32 v5, v207
	v_pk_add_f32 v[2:3], v[4:5], v[2:3]
	v_pk_mul_f32 v[4:5], v[242:243], s[34:35] op_sel_hi:[1,0]
	v_mov_b32_e32 v11, v7
	v_pk_fma_f32 v[50:51], v[240:241], s[12:13], v[4:5] op_sel:[0,0,1] op_sel_hi:[1,0,0]
	v_pk_fma_f32 v[210:211], v[240:241], s[12:13], v[4:5] op_sel:[0,0,1] op_sel_hi:[1,0,0] neg_lo:[0,0,1] neg_hi:[0,0,1]
	v_mov_b32_e32 v4, v50
	v_mov_b32_e32 v5, v211
	v_pk_add_f32 v[2:3], v[4:5], v[2:3]
	v_pk_mul_f32 v[4:5], v[246:247], s[28:29] op_sel_hi:[1,0]
	v_pk_mul_f32 v[146:147], v[222:223], s[36:37] op_sel_hi:[1,0]
	v_pk_fma_f32 v[212:213], v[244:245], s[16:17], v[4:5] op_sel:[0,0,1] op_sel_hi:[1,0,0]
	v_pk_fma_f32 v[214:215], v[244:245], s[16:17], v[4:5] op_sel:[0,0,1] op_sel_hi:[1,0,0] neg_lo:[0,0,1] neg_hi:[0,0,1]
	v_mov_b32_e32 v4, v212
	v_mov_b32_e32 v5, v215
	v_pk_add_f32 v[2:3], v[4:5], v[2:3]
	ds_write2_b64 v16, v[0:1], v[2:3] offset0:2 offset1:3
	v_pk_mul_f32 v[0:1], v[218:219], s[34:35] op_sel_hi:[1,0]
	v_pk_mul_f32 v[2:3], v[222:223], s[30:31] op_sel_hi:[1,0]
	v_pk_fma_f32 v[46:47], v[216:217], s[12:13], v[0:1] op_sel:[0,0,1] op_sel_hi:[1,0,0]
	v_pk_fma_f32 v[250:251], v[216:217], s[12:13], v[0:1] op_sel:[0,0,1] op_sel_hi:[1,0,0] neg_lo:[0,0,1] neg_hi:[0,0,1]
	v_mov_b32_e32 v0, v46
	v_mov_b32_e32 v1, v251
	v_pk_fma_f32 v[42:43], v[220:221], s[20:21], v[2:3] op_sel:[0,0,1] op_sel_hi:[1,0,0]
	v_pk_fma_f32 v[254:255], v[220:221], s[20:21], v[2:3] op_sel:[0,0,1] op_sel_hi:[1,0,0] neg_lo:[0,0,1] neg_hi:[0,0,1]
	v_pk_add_f32 v[0:1], v[32:33], v[0:1]
	v_mov_b32_e32 v2, v42
	v_mov_b32_e32 v3, v255
	v_pk_add_f32 v[0:1], v[2:3], v[0:1]
	v_pk_mul_f32 v[2:3], v[226:227], s[48:49] op_sel_hi:[1,0]
	v_pk_mul_f32 v[4:5], v[222:223], s[50:51] op_sel_hi:[1,0]
	v_pk_fma_f32 v[66:67], v[224:225], s[10:11], v[2:3] op_sel:[0,0,1] op_sel_hi:[1,0,0]
	v_pk_fma_f32 v[64:65], v[224:225], s[10:11], v[2:3] op_sel:[0,0,1] op_sel_hi:[1,0,0] neg_lo:[0,0,1] neg_hi:[0,0,1]
	v_mov_b32_e32 v2, v66
	v_mov_b32_e32 v3, v65
	v_pk_add_f32 v[0:1], v[2:3], v[0:1]
	v_pk_mul_f32 v[2:3], v[230:231], s[38:39] op_sel_hi:[1,0]
	v_pk_fma_f32 v[98:99], v[220:221], s[16:17], v[4:5] op_sel:[0,0,1] op_sel_hi:[1,0,0]
	v_pk_fma_f32 v[70:71], v[228:229], s[0:1], v[2:3] op_sel:[0,0,1] op_sel_hi:[1,0,0]
	v_pk_fma_f32 v[68:69], v[228:229], s[0:1], v[2:3] op_sel:[0,0,1] op_sel_hi:[1,0,0] neg_lo:[0,0,1] neg_hi:[0,0,1]
	v_mov_b32_e32 v2, v70
	v_mov_b32_e32 v3, v69
	v_pk_add_f32 v[0:1], v[2:3], v[0:1]
	v_pk_mul_f32 v[2:3], v[234:235], s[44:45] op_sel_hi:[1,0]
	v_pk_fma_f32 v[96:97], v[220:221], s[16:17], v[4:5] op_sel:[0,0,1] op_sel_hi:[1,0,0] neg_lo:[0,0,1] neg_hi:[0,0,1]
	v_pk_fma_f32 v[76:77], v[232:233], s[14:15], v[2:3] op_sel:[0,0,1] op_sel_hi:[1,0,0]
	v_pk_fma_f32 v[74:75], v[232:233], s[14:15], v[2:3] op_sel:[0,0,1] op_sel_hi:[1,0,0] neg_lo:[0,0,1] neg_hi:[0,0,1]
	v_mov_b32_e32 v2, v76
	v_mov_b32_e32 v3, v75
	v_pk_add_f32 v[0:1], v[2:3], v[0:1]
	v_pk_mul_f32 v[2:3], v[238:239], s[28:29] op_sel_hi:[1,0]
	v_mov_b32_e32 v4, v98
	v_pk_fma_f32 v[38:39], v[236:237], s[16:17], v[2:3] op_sel:[0,0,1] op_sel_hi:[1,0,0]
	v_pk_fma_f32 v[78:79], v[236:237], s[16:17], v[2:3] op_sel:[0,0,1] op_sel_hi:[1,0,0] neg_lo:[0,0,1] neg_hi:[0,0,1]
	v_mov_b32_e32 v2, v38
	v_mov_b32_e32 v3, v79
	v_pk_add_f32 v[0:1], v[2:3], v[0:1]
	v_pk_mul_f32 v[2:3], v[242:243], s[52:53] op_sel_hi:[1,0]
	v_mov_b32_e32 v5, v97
	v_pk_fma_f32 v[86:87], v[240:241], s[18:19], v[2:3] op_sel:[0,0,1] op_sel_hi:[1,0,0]
	v_pk_fma_f32 v[84:85], v[240:241], s[18:19], v[2:3] op_sel:[0,0,1] op_sel_hi:[1,0,0] neg_lo:[0,0,1] neg_hi:[0,0,1]
	v_mov_b32_e32 v2, v86
	v_mov_b32_e32 v3, v85
	v_pk_add_f32 v[0:1], v[2:3], v[0:1]
	v_pk_mul_f32 v[2:3], v[246:247], s[42:43] op_sel_hi:[1,0]
	v_pk_fma_f32 v[120:121], v[220:221], s[14:15], v[146:147] op_sel:[0,0,1] op_sel_hi:[1,0,0]
	v_pk_fma_f32 v[90:91], v[244:245], s[8:9], v[2:3] op_sel:[0,0,1] op_sel_hi:[1,0,0]
	v_pk_fma_f32 v[88:89], v[244:245], s[8:9], v[2:3] op_sel:[0,0,1] op_sel_hi:[1,0,0] neg_lo:[0,0,1] neg_hi:[0,0,1]
	v_mov_b32_e32 v2, v90
	v_mov_b32_e32 v3, v89
	v_pk_add_f32 v[0:1], v[2:3], v[0:1]
	v_pk_mul_f32 v[2:3], v[218:219], s[22:23] op_sel_hi:[1,0]
	v_pk_fma_f32 v[146:147], v[220:221], s[14:15], v[146:147] op_sel:[0,0,1] op_sel_hi:[1,0,0] neg_lo:[0,0,1] neg_hi:[0,0,1]
	v_pk_fma_f32 v[94:95], v[216:217], s[10:11], v[2:3] op_sel:[0,0,1] op_sel_hi:[1,0,0]
	v_pk_fma_f32 v[92:93], v[216:217], s[10:11], v[2:3] op_sel:[0,0,1] op_sel_hi:[1,0,0] neg_lo:[0,0,1] neg_hi:[0,0,1]
	v_mov_b32_e32 v2, v94
	v_mov_b32_e32 v3, v93
	v_pk_add_f32 v[2:3], v[32:33], v[2:3]
	v_mov_b32_e32 v118, v120
	v_pk_add_f32 v[2:3], v[4:5], v[2:3]
	v_pk_mul_f32 v[4:5], v[226:227], s[42:43] op_sel_hi:[1,0]
	v_mov_b32_e32 v119, v147
	v_pk_fma_f32 v[52:53], v[224:225], s[8:9], v[4:5] op_sel:[0,0,1] op_sel_hi:[1,0,0]
	v_pk_fma_f32 v[100:101], v[224:225], s[8:9], v[4:5] op_sel:[0,0,1] op_sel_hi:[1,0,0] neg_lo:[0,0,1] neg_hi:[0,0,1]
	v_mov_b32_e32 v4, v52
	v_mov_b32_e32 v5, v101
	v_pk_add_f32 v[2:3], v[4:5], v[2:3]
	v_pk_mul_f32 v[4:5], v[230:231], s[44:45] op_sel_hi:[1,0]
	v_mov_b32_e32 v147, v121
	v_pk_fma_f32 v[102:103], v[228:229], s[14:15], v[4:5] op_sel:[0,0,1] op_sel_hi:[1,0,0]
	v_pk_fma_f32 v[72:73], v[228:229], s[14:15], v[4:5] op_sel:[0,0,1] op_sel_hi:[1,0,0] neg_lo:[0,0,1] neg_hi:[0,0,1]
	v_mov_b32_e32 v4, v102
	v_mov_b32_e32 v5, v73
	v_pk_add_f32 v[2:3], v[4:5], v[2:3]
	v_pk_mul_f32 v[4:5], v[234:235], s[30:31] op_sel_hi:[1,0]
	v_mov_b32_e32 v7, v9
	v_pk_fma_f32 v[106:107], v[232:233], s[20:21], v[4:5] op_sel:[0,0,1] op_sel_hi:[1,0,0]
	v_pk_fma_f32 v[104:105], v[232:233], s[20:21], v[4:5] op_sel:[0,0,1] op_sel_hi:[1,0,0] neg_lo:[0,0,1] neg_hi:[0,0,1]
	v_mov_b32_e32 v4, v106
	v_mov_b32_e32 v5, v105
	v_pk_add_f32 v[2:3], v[4:5], v[2:3]
	v_pk_mul_f32 v[4:5], v[238:239], s[46:47] op_sel_hi:[1,0]
	v_mov_b32_e32 v93, v95
	v_pk_fma_f32 v[110:111], v[236:237], s[12:13], v[4:5] op_sel:[0,0,1] op_sel_hi:[1,0,0]
	v_pk_fma_f32 v[108:109], v[236:237], s[12:13], v[4:5] op_sel:[0,0,1] op_sel_hi:[1,0,0] neg_lo:[0,0,1] neg_hi:[0,0,1]
	v_mov_b32_e32 v4, v110
	v_mov_b32_e32 v5, v109
	v_pk_add_f32 v[2:3], v[4:5], v[2:3]
	v_pk_mul_f32 v[4:5], v[242:243], s[26:27] op_sel_hi:[1,0]
	v_mov_b32_e32 v251, v47
	v_pk_fma_f32 v[34:35], v[240:241], s[0:1], v[4:5] op_sel:[0,0,1] op_sel_hi:[1,0,0]
	v_pk_fma_f32 v[112:113], v[240:241], s[0:1], v[4:5] op_sel:[0,0,1] op_sel_hi:[1,0,0] neg_lo:[0,0,1] neg_hi:[0,0,1]
	v_mov_b32_e32 v4, v34
	v_mov_b32_e32 v5, v113
	v_pk_add_f32 v[2:3], v[4:5], v[2:3]
	v_pk_mul_f32 v[4:5], v[246:247], s[24:25] op_sel_hi:[1,0]
	v_mov_b32_e32 v97, v99
	v_pk_fma_f32 v[114:115], v[244:245], s[18:19], v[4:5] op_sel:[0,0,1] op_sel_hi:[1,0,0]
	v_pk_fma_f32 v[116:117], v[244:245], s[18:19], v[4:5] op_sel:[0,0,1] op_sel_hi:[1,0,0] neg_lo:[0,0,1] neg_hi:[0,0,1]
	v_mov_b32_e32 v4, v114
	v_mov_b32_e32 v5, v117
	v_pk_add_f32 v[2:3], v[4:5], v[2:3]
	ds_write2_b64 v16, v[0:1], v[2:3] offset0:4 offset1:5
	v_pk_mul_f32 v[0:1], v[218:219], s[24:25] op_sel_hi:[1,0]
	v_mov_b32_e32 v255, v43
	v_pk_fma_f32 v[2:3], v[216:217], s[18:19], v[0:1] op_sel:[0,0,1] op_sel_hi:[1,0,0]
	v_pk_fma_f32 v[0:1], v[216:217], s[18:19], v[0:1] op_sel:[0,0,1] op_sel_hi:[1,0,0] neg_lo:[0,0,1] neg_hi:[0,0,1]
	v_mov_b32_e32 v4, v2
	v_mov_b32_e32 v5, v1
	v_pk_add_f32 v[4:5], v[32:33], v[4:5]
	v_mov_b32_e32 v1, v3
	v_pk_add_f32 v[4:5], v[10:11], v[4:5]
	v_pk_mul_f32 v[10:11], v[226:227], s[26:27] op_sel_hi:[1,0]
	v_pk_add_f32 v[0:1], v[32:33], v[0:1]
	v_pk_fma_f32 v[82:83], v[224:225], s[0:1], v[10:11] op_sel:[0,0,1] op_sel_hi:[1,0,0]
	v_pk_fma_f32 v[10:11], v[224:225], s[0:1], v[10:11] op_sel:[0,0,1] op_sel_hi:[1,0,0] neg_lo:[0,0,1] neg_hi:[0,0,1]
	v_mov_b32_e32 v144, v82
	v_mov_b32_e32 v145, v11
	v_pk_add_f32 v[4:5], v[144:145], v[4:5]
	v_pk_mul_f32 v[144:145], v[230:231], s[28:29] op_sel_hi:[1,0]
	v_pk_add_f32 v[0:1], v[6:7], v[0:1]
	v_pk_fma_f32 v[148:149], v[228:229], s[16:17], v[144:145] op_sel:[0,0,1] op_sel_hi:[1,0,0]
	v_pk_fma_f32 v[144:145], v[228:229], s[16:17], v[144:145] op_sel:[0,0,1] op_sel_hi:[1,0,0] neg_lo:[0,0,1] neg_hi:[0,0,1]
	v_mov_b32_e32 v138, v148
	v_mov_b32_e32 v139, v145
	v_pk_add_f32 v[4:5], v[138:139], v[4:5]
	v_pk_mul_f32 v[138:139], v[234:235], s[46:47] op_sel_hi:[1,0]
	v_mov_b32_e32 v11, v83
	v_pk_fma_f32 v[134:135], v[232:233], s[12:13], v[138:139] op_sel:[0,0,1] op_sel_hi:[1,0,0]
	v_pk_fma_f32 v[138:139], v[232:233], s[12:13], v[138:139] op_sel:[0,0,1] op_sel_hi:[1,0,0] neg_lo:[0,0,1] neg_hi:[0,0,1]
	v_mov_b32_e32 v152, v134
	v_mov_b32_e32 v153, v139
	v_pk_add_f32 v[4:5], v[152:153], v[4:5]
	v_pk_mul_f32 v[152:153], v[238:239], s[40:41] op_sel_hi:[1,0]
	v_pk_add_f32 v[0:1], v[10:11], v[0:1]
	v_pk_fma_f32 v[160:161], v[236:237], s[8:9], v[152:153] op_sel:[0,0,1] op_sel_hi:[1,0,0]
	v_pk_fma_f32 v[152:153], v[236:237], s[8:9], v[152:153] op_sel:[0,0,1] op_sel_hi:[1,0,0] neg_lo:[0,0,1] neg_hi:[0,0,1]
	v_mov_b32_e32 v156, v160
	v_mov_b32_e32 v157, v153
	v_pk_add_f32 v[4:5], v[156:157], v[4:5]
	v_pk_mul_f32 v[156:157], v[242:243], s[30:31] op_sel_hi:[1,0]
	v_mov_b32_e32 v145, v149
	v_pk_fma_f32 v[168:169], v[240:241], s[20:21], v[156:157] op_sel:[0,0,1] op_sel_hi:[1,0,0]
	v_pk_fma_f32 v[156:157], v[240:241], s[20:21], v[156:157] op_sel:[0,0,1] op_sel_hi:[1,0,0] neg_lo:[0,0,1] neg_hi:[0,0,1]
	v_mov_b32_e32 v164, v168
	v_mov_b32_e32 v165, v157
	v_pk_add_f32 v[4:5], v[164:165], v[4:5]
	v_pk_mul_f32 v[164:165], v[246:247], s[36:37] op_sel_hi:[1,0]
	v_pk_add_f32 v[0:1], v[144:145], v[0:1]
	v_pk_fma_f32 v[180:181], v[244:245], s[14:15], v[164:165] op_sel:[0,0,1] op_sel_hi:[1,0,0]
	v_pk_fma_f32 v[164:165], v[244:245], s[14:15], v[164:165] op_sel:[0,0,1] op_sel_hi:[1,0,0] neg_lo:[0,0,1] neg_hi:[0,0,1]
	v_mov_b32_e32 v176, v180
	v_mov_b32_e32 v177, v165
	v_pk_add_f32 v[4:5], v[176:177], v[4:5]
	v_pk_mul_f32 v[176:177], v[218:219], s[28:29] op_sel_hi:[1,0]
	v_mov_b32_e32 v139, v135
	v_pk_fma_f32 v[142:143], v[216:217], s[16:17], v[176:177] op_sel:[0,0,1] op_sel_hi:[1,0,0]
	v_pk_fma_f32 v[176:177], v[216:217], s[16:17], v[176:177] op_sel:[0,0,1] op_sel_hi:[1,0,0] neg_lo:[0,0,1] neg_hi:[0,0,1]
	v_mov_b32_e32 v140, v142
	v_mov_b32_e32 v141, v177
	v_pk_add_f32 v[140:141], v[32:33], v[140:141]
	v_mov_b32_e32 v177, v143
	v_pk_add_f32 v[118:119], v[118:119], v[140:141]
	v_pk_mul_f32 v[140:141], v[226:227], s[34:35] op_sel_hi:[1,0]
	v_pk_add_f32 v[0:1], v[138:139], v[0:1]
	v_pk_fma_f32 v[248:249], v[224:225], s[12:13], v[140:141] op_sel:[0,0,1] op_sel_hi:[1,0,0]
	v_pk_fma_f32 v[140:141], v[224:225], s[12:13], v[140:141] op_sel:[0,0,1] op_sel_hi:[1,0,0] neg_lo:[0,0,1] neg_hi:[0,0,1]
	v_mov_b32_e32 v208, v248
	v_mov_b32_e32 v209, v141
	v_pk_add_f32 v[118:119], v[208:209], v[118:119]
	v_pk_mul_f32 v[208:209], v[230:231], s[52:53] op_sel_hi:[1,0]
	v_mov_b32_e32 v141, v249
	v_pk_fma_f32 v[122:123], v[228:229], s[18:19], v[208:209] op_sel:[0,0,1] op_sel_hi:[1,0,0]
	v_pk_fma_f32 v[208:209], v[228:229], s[18:19], v[208:209] op_sel:[0,0,1] op_sel_hi:[1,0,0] neg_lo:[0,0,1] neg_hi:[0,0,1]
	v_mov_b32_e32 v252, v122
	v_mov_b32_e32 v253, v209
	v_pk_add_f32 v[118:119], v[252:253], v[118:119]
	v_pk_mul_f32 v[252:253], v[234:235], s[26:27] op_sel_hi:[1,0]
	v_mov_b32_e32 v209, v123
	;; [unrolled: 7-line block ×5, first 2 shown]
	v_pk_fma_f32 v[12:13], v[244:245], s[10:11], v[132:133] op_sel:[0,0,1] op_sel_hi:[1,0,0]
	v_pk_fma_f32 v[132:133], v[244:245], s[10:11], v[132:133] op_sel:[0,0,1] op_sel_hi:[1,0,0] neg_lo:[0,0,1] neg_hi:[0,0,1]
	v_mov_b32_e32 v80, v12
	v_mov_b32_e32 v81, v133
	v_pk_add_f32 v[14:15], v[80:81], v[118:119]
	ds_write2_b64 v16, v[4:5], v[14:15] offset0:6 offset1:7
	v_pk_mul_f32 v[4:5], v[218:219], s[30:31] op_sel_hi:[1,0]
	v_pk_mul_f32 v[80:81], v[222:223], s[38:39] op_sel_hi:[1,0]
	v_pk_fma_f32 v[14:15], v[216:217], s[20:21], v[4:5] op_sel:[0,0,1] op_sel_hi:[1,0,0]
	v_pk_fma_f32 v[4:5], v[216:217], s[20:21], v[4:5] op_sel:[0,0,1] op_sel_hi:[1,0,0] neg_lo:[0,0,1] neg_hi:[0,0,1]
	v_pk_fma_f32 v[118:119], v[220:221], s[0:1], v[80:81] op_sel:[0,0,1] op_sel_hi:[1,0,0]
	v_pk_fma_f32 v[80:81], v[220:221], s[0:1], v[80:81] op_sel:[0,0,1] op_sel_hi:[1,0,0] neg_lo:[0,0,1] neg_hi:[0,0,1]
	v_mov_b32_e32 v216, v14
	v_mov_b32_e32 v217, v5
	v_pk_add_f32 v[216:217], v[32:33], v[216:217]
	v_mov_b32_e32 v218, v118
	v_mov_b32_e32 v219, v81
	v_pk_add_f32 v[216:217], v[218:219], v[216:217]
	v_pk_mul_f32 v[218:219], v[226:227], s[28:29] op_sel_hi:[1,0]
	v_mov_b32_e32 v5, v15
	v_pk_fma_f32 v[220:221], v[224:225], s[16:17], v[218:219] op_sel:[0,0,1] op_sel_hi:[1,0,0]
	v_pk_fma_f32 v[218:219], v[224:225], s[16:17], v[218:219] op_sel:[0,0,1] op_sel_hi:[1,0,0] neg_lo:[0,0,1] neg_hi:[0,0,1]
	v_mov_b32_e32 v222, v220
	v_mov_b32_e32 v223, v219
	v_pk_add_f32 v[216:217], v[222:223], v[216:217]
	v_pk_mul_f32 v[222:223], v[230:231], s[42:43] op_sel_hi:[1,0]
	v_mov_b32_e32 v81, v119
	v_pk_fma_f32 v[224:225], v[228:229], s[8:9], v[222:223] op_sel:[0,0,1] op_sel_hi:[1,0,0]
	v_pk_fma_f32 v[222:223], v[228:229], s[8:9], v[222:223] op_sel:[0,0,1] op_sel_hi:[1,0,0] neg_lo:[0,0,1] neg_hi:[0,0,1]
	v_mov_b32_e32 v226, v224
	v_mov_b32_e32 v227, v223
	v_pk_add_f32 v[216:217], v[226:227], v[216:217]
	v_pk_mul_f32 v[226:227], v[234:235], s[24:25] op_sel_hi:[1,0]
	v_pk_add_f32 v[4:5], v[32:33], v[4:5]
	v_pk_fma_f32 v[228:229], v[232:233], s[18:19], v[226:227] op_sel:[0,0,1] op_sel_hi:[1,0,0]
	v_pk_fma_f32 v[226:227], v[232:233], s[18:19], v[226:227] op_sel:[0,0,1] op_sel_hi:[1,0,0] neg_lo:[0,0,1] neg_hi:[0,0,1]
	v_mov_b32_e32 v230, v228
	v_mov_b32_e32 v231, v227
	v_pk_add_f32 v[216:217], v[230:231], v[216:217]
	v_pk_mul_f32 v[230:231], v[238:239], s[36:37] op_sel_hi:[1,0]
	v_pk_add_f32 v[4:5], v[80:81], v[4:5]
	v_pk_fma_f32 v[232:233], v[236:237], s[14:15], v[230:231] op_sel:[0,0,1] op_sel_hi:[1,0,0]
	v_pk_fma_f32 v[230:231], v[236:237], s[14:15], v[230:231] op_sel:[0,0,1] op_sel_hi:[1,0,0] neg_lo:[0,0,1] neg_hi:[0,0,1]
	v_mov_b32_e32 v234, v232
	v_mov_b32_e32 v235, v231
	v_pk_add_f32 v[216:217], v[234:235], v[216:217]
	v_pk_mul_f32 v[234:235], v[242:243], s[22:23] op_sel_hi:[1,0]
	v_mov_b32_e32 v219, v221
	v_pk_fma_f32 v[236:237], v[240:241], s[10:11], v[234:235] op_sel:[0,0,1] op_sel_hi:[1,0,0]
	v_pk_fma_f32 v[234:235], v[240:241], s[10:11], v[234:235] op_sel:[0,0,1] op_sel_hi:[1,0,0] neg_lo:[0,0,1] neg_hi:[0,0,1]
	v_pk_add_f32 v[4:5], v[218:219], v[4:5]
	v_mov_b32_e32 v223, v225
	v_mov_b32_e32 v238, v236
	;; [unrolled: 1-line block ×3, first 2 shown]
	v_pk_add_f32 v[4:5], v[222:223], v[4:5]
	v_mov_b32_e32 v227, v229
	v_pk_add_f32 v[216:217], v[238:239], v[216:217]
	v_pk_mul_f32 v[238:239], v[246:247], s[46:47] op_sel_hi:[1,0]
	v_pk_add_f32 v[4:5], v[226:227], v[4:5]
	v_mov_b32_e32 v231, v233
	v_pk_fma_f32 v[240:241], v[244:245], s[12:13], v[238:239] op_sel:[0,0,1] op_sel_hi:[1,0,0]
	v_pk_fma_f32 v[238:239], v[244:245], s[12:13], v[238:239] op_sel:[0,0,1] op_sel_hi:[1,0,0] neg_lo:[0,0,1] neg_hi:[0,0,1]
	v_pk_add_f32 v[4:5], v[230:231], v[4:5]
	v_mov_b32_e32 v235, v237
	v_mov_b32_e32 v242, v240
	;; [unrolled: 1-line block ×3, first 2 shown]
	v_pk_add_f32 v[4:5], v[234:235], v[4:5]
	v_mov_b32_e32 v239, v241
	v_pk_add_f32 v[216:217], v[242:243], v[216:217]
	v_pk_add_f32 v[4:5], v[238:239], v[4:5]
	ds_write2_b64 v16, v[216:217], v[4:5] offset0:8 offset1:9
	v_pk_add_f32 v[4:5], v[32:33], v[176:177]
	v_mov_b32_e32 v129, v137
	v_pk_add_f32 v[4:5], v[146:147], v[4:5]
	v_pk_add_f32 v[0:1], v[152:153], v[0:1]
	;; [unrolled: 1-line block ×3, first 2 shown]
	v_mov_b32_e32 v157, v169
	v_pk_add_f32 v[4:5], v[208:209], v[4:5]
	v_mov_b32_e32 v133, v13
	v_pk_add_f32 v[4:5], v[252:253], v[4:5]
	v_pk_add_f32 v[0:1], v[156:157], v[0:1]
	;; [unrolled: 1-line block ×3, first 2 shown]
	v_mov_b32_e32 v165, v181
	v_pk_add_f32 v[4:5], v[128:129], v[4:5]
	v_pk_add_f32 v[0:1], v[164:165], v[0:1]
	;; [unrolled: 1-line block ×3, first 2 shown]
	ds_write2_b64 v16, v[4:5], v[0:1] offset0:10 offset1:11
	v_pk_add_f32 v[0:1], v[32:33], v[92:93]
	v_pk_add_f32 v[2:3], v[32:33], v[250:251]
	;; [unrolled: 1-line block ×3, first 2 shown]
	v_mov_b32_e32 v101, v53
	v_pk_add_f32 v[2:3], v[254:255], v[2:3]
	v_mov_b32_e32 v65, v67
	v_pk_add_f32 v[0:1], v[100:101], v[0:1]
	;; [unrolled: 2-line block ×12, first 2 shown]
	v_pk_add_f32 v[2:3], v[88:89], v[2:3]
	v_mov_b32_e32 v187, v185
	v_mov_b32_e32 v155, v37
	ds_write2_b64 v16, v[0:1], v[2:3] offset0:12 offset1:13
	v_pk_add_f32 v[0:1], v[32:33], v[186:187]
	v_mov_b32_e32 v191, v189
	v_pk_add_f32 v[2:3], v[32:33], v[154:155]
	v_mov_b32_e32 v159, v41
	;; [unrolled: 2-line block ×14, first 2 shown]
	v_pk_add_f32 v[0:1], v[214:215], v[0:1]
	v_pk_add_f32 v[2:3], v[182:183], v[2:3]
	v_mov_b32_e32 v37, v17
	ds_write2_b64 v16, v[0:1], v[2:3] offset0:14 offset1:15
	v_pk_add_f32 v[0:1], v[32:33], v[36:37]
	v_accvgpr_read_b32 v41, a105
	v_pk_add_f32 v[0:1], v[40:41], v[0:1]
	v_accvgpr_read_b32 v45, a107
	;; [unrolled: 2-line block ×7, first 2 shown]
	v_pk_add_f32 v[0:1], v[150:151], v[0:1]
	ds_write_b64 v16, v[0:1] offset:128
	s_waitcnt lgkmcnt(0)
	s_barrier
	ds_read2_b64 v[32:35], v172 offset0:204 offset1:238
	ds_read2_b64 v[38:41], v172 offset0:68 offset1:102
	ds_read2_b64 v[42:45], v173 offset0:16 offset1:50
	v_accvgpr_read_b32 v71, a41
	v_accvgpr_read_b32 v70, a40
	s_waitcnt lgkmcnt(2)
	v_pk_mul_f32 v[2:3], v[70:71], v[32:33] op_sel:[0,1] op_sel_hi:[1,0]
	v_accvgpr_read_b32 v10, a46
	v_mov_b32_e32 v2, v3
	v_accvgpr_read_b32 v11, a47
	v_pk_fma_f32 v[4:5], v[70:71], v[32:33], v[2:3] op_sel:[0,1,0] op_sel_hi:[1,0,1] neg_lo:[0,0,1] neg_hi:[0,0,1]
	v_mov_b32_e32 v2, v11
	v_pk_mul_f32 v[2:3], v[2:3], v[34:35] op_sel:[0,1] op_sel_hi:[1,0]
	v_mov_b32_e32 v0, v71
	v_pk_fma_f32 v[6:7], v[10:11], v[34:35], v[2:3]
	v_pk_mul_f32 v[2:3], v[10:11], v[34:35] op_sel:[0,1] op_sel_hi:[1,0]
	v_accvgpr_read_b32 v12, a48
	v_mov_b32_e32 v2, v3
	v_pk_fma_f32 v[8:9], v[10:11], v[34:35], v[2:3] op_sel:[0,1,0] op_sel_hi:[1,0,1] neg_lo:[0,0,1] neg_hi:[0,0,1]
	v_accvgpr_read_b32 v10, a64
	v_accvgpr_read_b32 v11, a65
	;; [unrolled: 1-line block ×3, first 2 shown]
	s_waitcnt lgkmcnt(0)
	v_pk_mul_f32 v[10:11], v[10:11], v[42:43]
	v_pk_mul_f32 v[0:1], v[0:1], v[32:33] op_sel:[0,1] op_sel_hi:[1,0]
	v_pk_fma_f32 v[54:55], v[12:13], v[42:43], v[10:11] op_sel:[0,0,1] op_sel_hi:[1,1,0]
	v_pk_fma_f32 v[10:11], v[12:13], v[42:43], v[10:11] op_sel:[0,0,1] op_sel_hi:[1,1,0] neg_lo:[0,0,1] neg_hi:[0,0,1]
	v_accvgpr_read_b32 v12, a102
	v_pk_fma_f32 v[0:1], v[70:71], v[32:33], v[0:1]
	ds_read2_b64 v[32:35], v173 offset0:84 offset1:118
	ds_read2_b64 v[46:49], v173 offset0:152 offset1:186
	;; [unrolled: 1-line block ×3, first 2 shown]
	ds_read_b64 v[2:3], v172 offset:4352
	v_accvgpr_read_b32 v13, a103
	v_pk_mul_f32 v[12:13], v[12:13], v[44:45]
	v_mov_b32_e32 v80, v0
	v_pk_fma_f32 v[56:57], v[18:19], v[44:45], v[12:13] op_sel:[0,0,1] op_sel_hi:[1,1,0]
	v_pk_fma_f32 v[16:17], v[18:19], v[44:45], v[12:13] op_sel:[0,0,1] op_sel_hi:[1,1,0] neg_lo:[0,0,1] neg_hi:[0,0,1]
	s_waitcnt lgkmcnt(3)
	v_pk_mul_f32 v[12:13], v[22:23], v[32:33]
	s_mov_b32 s19, s24
	v_pk_fma_f32 v[14:15], v[20:21], v[32:33], v[12:13] op_sel:[0,0,1] op_sel_hi:[1,1,0]
	v_pk_fma_f32 v[18:19], v[20:21], v[32:33], v[12:13] op_sel:[0,0,1] op_sel_hi:[1,1,0] neg_lo:[0,0,1] neg_hi:[0,0,1]
	v_accvgpr_read_b32 v12, a100
	v_accvgpr_read_b32 v13, a101
	;; [unrolled: 1-line block ×3, first 2 shown]
	v_pk_mul_f32 v[12:13], v[12:13], v[34:35]
	v_accvgpr_read_b32 v21, a51
	v_pk_fma_f32 v[32:33], v[20:21], v[34:35], v[12:13] op_sel:[0,0,1] op_sel_hi:[1,1,0]
	v_pk_fma_f32 v[12:13], v[20:21], v[34:35], v[12:13] op_sel:[0,0,1] op_sel_hi:[1,1,0] neg_lo:[0,0,1] neg_hi:[0,0,1]
	v_accvgpr_read_b32 v20, a68
	v_accvgpr_read_b32 v21, a69
	s_waitcnt lgkmcnt(2)
	v_pk_mul_f32 v[34:35], v[20:21], v[46:47]
	v_accvgpr_read_b32 v20, a98
	v_accvgpr_read_b32 v22, a52
	v_accvgpr_read_b32 v23, a53
	v_accvgpr_read_b32 v21, a99
	v_pk_fma_f32 v[64:65], v[22:23], v[46:47], v[34:35] op_sel:[0,0,1] op_sel_hi:[1,1,0]
	v_pk_fma_f32 v[66:67], v[22:23], v[46:47], v[34:35] op_sel:[0,0,1] op_sel_hi:[1,1,0] neg_lo:[0,0,1] neg_hi:[0,0,1]
	v_pk_mul_f32 v[34:35], v[20:21], v[48:49]
	v_accvgpr_read_b32 v20, a62
	v_pk_fma_f32 v[74:75], v[24:25], v[48:49], v[34:35] op_sel:[0,0,1] op_sel_hi:[1,1,0]
	v_pk_fma_f32 v[24:25], v[24:25], v[48:49], v[34:35] op_sel:[0,0,1] op_sel_hi:[1,1,0] neg_lo:[0,0,1] neg_hi:[0,0,1]
	v_accvgpr_read_b32 v21, a63
	v_mov_b32_e32 v75, v25
	s_waitcnt lgkmcnt(1)
	v_pk_mul_f32 v[24:25], v[20:21], v[50:51]
	v_accvgpr_read_b32 v20, a96
	v_pk_fma_f32 v[76:77], v[26:27], v[50:51], v[24:25] op_sel:[0,0,1] op_sel_hi:[1,1,0]
	v_pk_fma_f32 v[24:25], v[26:27], v[50:51], v[24:25] op_sel:[0,0,1] op_sel_hi:[1,1,0] neg_lo:[0,0,1] neg_hi:[0,0,1]
	v_accvgpr_read_b32 v21, a97
	v_mov_b32_e32 v77, v25
	v_pk_mul_f32 v[24:25], v[20:21], v[52:53]
	v_accvgpr_read_b32 v20, a70
	v_pk_fma_f32 v[78:79], v[28:29], v[52:53], v[24:25] op_sel:[0,0,1] op_sel_hi:[1,1,0]
	v_pk_fma_f32 v[24:25], v[28:29], v[52:53], v[24:25] op_sel:[0,0,1] op_sel_hi:[1,1,0] neg_lo:[0,0,1] neg_hi:[0,0,1]
	v_accvgpr_read_b32 v21, a71
	v_mov_b32_e32 v79, v25
	s_waitcnt lgkmcnt(0)
	v_pk_mul_f32 v[24:25], v[20:21], v[2:3]
	v_mov_b32_e32 v81, v4
	v_pk_fma_f32 v[52:53], v[30:31], v[2:3], v[24:25] op_sel:[0,0,1] op_sel_hi:[1,1,0]
	v_pk_fma_f32 v[2:3], v[30:31], v[2:3], v[24:25] op_sel:[0,0,1] op_sel_hi:[1,1,0] neg_lo:[0,0,1] neg_hi:[0,0,1]
	v_pk_add_f32 v[42:43], v[4:5], v[12:13] op_sel_hi:[0,1]
	v_mov_b32_e32 v53, v3
	v_pk_add_f32 v[2:3], v[0:1], v[32:33]
	v_pk_add_f32 v[0:1], v[0:1], v[32:33] neg_lo:[0,1] neg_hi:[0,1]
	s_mov_b32 s25, s18
	v_mov_b32_e32 v3, v0
	v_pk_add_f32 v[0:1], v[4:5], v[12:13] op_sel:[0,1] neg_lo:[0,1] neg_hi:[0,1]
	v_pk_mul_f32 v[4:5], v[2:3], s[18:19]
	v_mov_b32_e32 v63, v13
	v_mov_b32_e32 v42, v0
	v_pk_fma_f32 v[140:141], v[0:1], s[24:25], v[4:5] neg_lo:[1,0,0] neg_hi:[1,0,0]
	v_pk_add_f32 v[12:13], v[6:7], v[14:15]
	v_pk_add_f32 v[0:1], v[6:7], v[14:15] neg_lo:[0,1] neg_hi:[0,1]
	s_mov_b32 s17, s28
	v_mov_b32_e32 v13, v0
	v_mov_b32_e32 v82, v6
	v_pk_add_f32 v[0:1], v[8:9], v[18:19] op_sel:[0,1] neg_lo:[0,1] neg_hi:[0,1]
	v_pk_add_f32 v[44:45], v[8:9], v[18:19] op_sel_hi:[0,1]
	s_mov_b32 s29, s16
	v_pk_mul_f32 v[6:7], v[12:13], s[16:17]
	v_mov_b32_e32 v60, v14
	v_mov_b32_e32 v44, v0
	v_pk_fma_f32 v[142:143], v[0:1], s[28:29], v[6:7] neg_lo:[1,0,0] neg_hi:[1,0,0]
	v_pk_add_f32 v[14:15], v[54:55], v[56:57]
	v_pk_add_f32 v[0:1], v[54:55], v[56:57] neg_lo:[0,1] neg_hi:[0,1]
	s_mov_b32 s21, s30
	v_mov_b32_e32 v15, v0
	v_mov_b32_e32 v59, v17
	v_pk_add_f32 v[0:1], v[10:11], v[16:17] neg_lo:[0,1] neg_hi:[0,1]
	v_pk_add_f32 v[46:47], v[10:11], v[16:17]
	s_mov_b32 s31, s20
	v_pk_mul_f32 v[16:17], v[14:15], s[20:21]
	v_pk_fma_f32 v[84:85], v[42:43], s[24:25], v[4:5]
	v_mov_b32_e32 v46, v1
	v_pk_fma_f32 v[150:151], v[0:1], s[30:31], v[16:17] op_sel:[1,0,0] neg_lo:[1,0,0] neg_hi:[1,0,0]
	v_pk_fma_f32 v[0:1], v[42:43], s[24:25], v[4:5] neg_lo:[0,0,1] neg_hi:[0,0,1]
	v_mov_b32_e32 v141, v85
	v_pk_fma_f32 v[86:87], v[44:45], s[28:29], v[6:7]
	v_mov_b32_e32 v85, v1
	v_pk_fma_f32 v[0:1], v[44:45], s[28:29], v[6:7] neg_lo:[0,0,1] neg_hi:[0,0,1]
	v_mov_b32_e32 v36, v54
	v_mov_b32_e32 v143, v87
	v_pk_fma_f32 v[54:55], v[46:47], s[30:31], v[16:17]
	v_mov_b32_e32 v87, v1
	v_pk_fma_f32 v[0:1], v[46:47], s[30:31], v[16:17] neg_lo:[0,0,1] neg_hi:[0,0,1]
	v_mov_b32_e32 v151, v55
	v_mov_b32_e32 v55, v1
	v_accvgpr_read_b32 v0, a94
	ds_read2_b64 v[48:51], v172 offset0:136 offset1:170
	v_accvgpr_read_b32 v1, a95
	v_accvgpr_read_b32 v4, a54
	v_pk_mul_f32 v[0:1], v[0:1], v[40:41]
	v_accvgpr_read_b32 v5, a55
	v_mov_b32_e32 v58, v56
	v_pk_fma_f32 v[56:57], v[4:5], v[40:41], v[0:1] op_sel:[0,0,1] op_sel_hi:[1,1,0]
	v_pk_fma_f32 v[0:1], v[4:5], v[40:41], v[0:1] op_sel:[0,0,1] op_sel_hi:[1,1,0] neg_lo:[0,0,1] neg_hi:[0,0,1]
	v_accvgpr_read_b32 v6, a56
	v_mov_b32_e32 v57, v1
	v_accvgpr_read_b32 v0, a60
	v_accvgpr_read_b32 v1, a61
	;; [unrolled: 1-line block ×3, first 2 shown]
	s_waitcnt lgkmcnt(0)
	v_pk_mul_f32 v[0:1], v[0:1], v[48:49]
	v_pk_add_f32 v[146:147], v[56:57], v[76:77] neg_lo:[0,1] neg_hi:[0,1]
	v_pk_fma_f32 v[40:41], v[6:7], v[48:49], v[0:1] op_sel:[0,0,1] op_sel_hi:[1,1,0]
	v_pk_fma_f32 v[0:1], v[6:7], v[48:49], v[0:1] op_sel:[0,0,1] op_sel_hi:[1,1,0] neg_lo:[0,0,1] neg_hi:[0,0,1]
	v_pk_add_f32 v[138:139], v[56:57], v[76:77]
	v_mov_b32_e32 v41, v1
	v_pk_mul_f32 v[0:1], v[146:147], s[24:25] op_sel_hi:[1,0]
	v_pk_add_f32 v[148:149], v[40:41], v[74:75] neg_lo:[0,1] neg_hi:[0,1]
	v_mov_b32_e32 v37, v11
	v_mov_b32_e32 v83, v8
	ds_read2_b64 v[8:11], v172 offset1:34
	v_pk_fma_f32 v[20:21], v[138:139], s[18:19], v[0:1] op_sel:[0,0,1] op_sel_hi:[1,0,0]
	v_pk_fma_f32 v[16:17], v[138:139], s[18:19], v[0:1] op_sel:[0,0,1] op_sel_hi:[1,0,0] neg_lo:[0,0,1] neg_hi:[0,0,1]
	v_pk_add_f32 v[144:145], v[40:41], v[74:75]
	v_pk_mul_f32 v[0:1], v[148:149], s[30:31] op_sel_hi:[1,0]
	v_mov_b32_e32 v61, v19
	v_pk_fma_f32 v[22:23], v[144:145], s[20:21], v[0:1] op_sel:[0,0,1] op_sel_hi:[1,0,0]
	v_pk_fma_f32 v[18:19], v[144:145], s[20:21], v[0:1] op_sel:[0,0,1] op_sel_hi:[1,0,0] neg_lo:[0,0,1] neg_hi:[0,0,1]
	v_mov_b32_e32 v0, v138
	v_mov_b32_e32 v1, v146
	s_mov_b32 s15, s44
	v_pk_mul_f32 v[92:93], v[0:1], s[14:15]
	v_mov_b32_e32 v0, v144
	v_mov_b32_e32 v1, v148
	s_mov_b32 s13, s34
	v_pk_mul_f32 v[98:99], v[0:1], s[12:13]
	v_accvgpr_read_b32 v0, a92
	v_accvgpr_read_b32 v1, a93
	;; [unrolled: 1-line block ×3, first 2 shown]
	s_waitcnt lgkmcnt(0)
	v_pk_mul_f32 v[0:1], v[0:1], v[10:11]
	v_accvgpr_read_b32 v109, a43
	v_accvgpr_read_b32 v108, a42
	v_pk_fma_f32 v[4:5], v[108:109], v[10:11], v[0:1] op_sel:[0,0,1] op_sel_hi:[1,1,0]
	v_pk_fma_f32 v[0:1], v[108:109], v[10:11], v[0:1] op_sel:[0,0,1] op_sel_hi:[1,1,0] neg_lo:[0,0,1] neg_hi:[0,0,1]
	v_accvgpr_read_b32 v110, a44
	v_mov_b32_e32 v5, v1
	v_accvgpr_read_b32 v0, a58
	v_accvgpr_read_b32 v1, a59
	v_pk_mul_f32 v[0:1], v[0:1], v[38:39]
	v_accvgpr_read_b32 v69, a39
	v_pk_fma_f32 v[6:7], v[110:111], v[38:39], v[0:1] op_sel:[0,0,1] op_sel_hi:[1,1,0]
	v_pk_fma_f32 v[0:1], v[110:111], v[38:39], v[0:1] op_sel:[0,0,1] op_sel_hi:[1,1,0] neg_lo:[0,0,1] neg_hi:[0,0,1]
	v_accvgpr_read_b32 v68, a38
	v_mov_b32_e32 v7, v1
	v_accvgpr_read_b32 v0, a90
	v_accvgpr_read_b32 v1, a91
	v_pk_mul_f32 v[0:1], v[0:1], v[50:51]
	s_mov_b32 s23, s10
	v_pk_fma_f32 v[10:11], v[68:69], v[50:51], v[0:1] op_sel:[0,0,1] op_sel_hi:[1,1,0]
	v_pk_fma_f32 v[38:39], v[68:69], v[50:51], v[0:1] op_sel:[0,0,1] op_sel_hi:[1,1,0] neg_lo:[0,0,1] neg_hi:[0,0,1]
	v_mov_b32_e32 v50, v10
	v_pk_add_f32 v[0:1], v[10:11], v[64:65]
	v_pk_add_f32 v[10:11], v[10:11], v[64:65] neg_lo:[0,1] neg_hi:[0,1]
	v_mov_b32_e32 v51, v39
	v_mov_b32_e32 v1, v10
	v_pk_add_f32 v[10:11], v[38:39], v[66:67] neg_lo:[0,1] neg_hi:[0,1]
	v_pk_add_f32 v[186:187], v[38:39], v[66:67]
	v_pk_mul_f32 v[38:39], v[0:1], s[60:61]
	v_mov_b32_e32 v186, v11
	v_pk_fma_f32 v[230:231], v[10:11], s[22:23], v[38:39] op_sel:[1,0,0] neg_lo:[1,0,0] neg_hi:[1,0,0]
	v_pk_add_f32 v[10:11], v[8:9], v[4:5]
	v_mov_b32_e32 v62, v32
	v_pk_add_f32 v[10:11], v[10:11], v[6:7]
	v_mov_b32_e32 v72, v64
	;; [unrolled: 2-line block ×3, first 2 shown]
	v_pk_add_f32 v[10:11], v[10:11], v[40:41]
	v_pk_add_f32 v[204:205], v[4:5], v[52:53] neg_lo:[0,1] neg_hi:[0,1]
	v_pk_add_f32 v[10:11], v[10:11], v[50:51]
	s_mov_b32 s1, s38
	v_pk_add_f32 v[10:11], v[10:11], v[80:81]
	v_pk_add_f32 v[196:197], v[4:5], v[52:53]
	;; [unrolled: 1-line block ×3, first 2 shown]
	v_pk_mul_f32 v[4:5], v[204:205], s[26:27] op_sel_hi:[1,0]
	v_pk_add_f32 v[10:11], v[10:11], v[36:37]
	v_pk_add_f32 v[210:211], v[6:7], v[78:79] neg_lo:[0,1] neg_hi:[0,1]
	v_pk_add_f32 v[10:11], v[10:11], v[58:59]
	v_pk_fma_f32 v[66:67], v[196:197], s[0:1], v[4:5] op_sel:[0,0,1] op_sel_hi:[1,0,0]
	v_pk_add_f32 v[10:11], v[10:11], v[60:61]
	v_pk_fma_f32 v[64:65], v[196:197], s[0:1], v[4:5] op_sel:[0,0,1] op_sel_hi:[1,0,0] neg_lo:[0,0,1] neg_hi:[0,0,1]
	v_pk_add_f32 v[10:11], v[10:11], v[62:63]
	v_pk_add_f32 v[200:201], v[6:7], v[78:79]
	;; [unrolled: 1-line block ×3, first 2 shown]
	v_pk_mul_f32 v[6:7], v[210:211], s[40:41] op_sel_hi:[1,0]
	v_pk_add_f32 v[10:11], v[10:11], v[74:75]
	v_mov_b32_e32 v4, v66
	v_pk_add_f32 v[10:11], v[10:11], v[76:77]
	v_mov_b32_e32 v5, v65
	v_pk_fma_f32 v[70:71], v[200:201], s[8:9], v[6:7] op_sel:[0,0,1] op_sel_hi:[1,0,0]
	v_pk_fma_f32 v[68:69], v[200:201], s[8:9], v[6:7] op_sel:[0,0,1] op_sel_hi:[1,0,0] neg_lo:[0,0,1] neg_hi:[0,0,1]
	v_pk_add_f32 v[10:11], v[10:11], v[78:79]
	v_pk_mul_f32 v[36:37], v[204:205], s[40:41] op_sel_hi:[1,0]
	s_mov_b32 s35, s12
	v_pk_add_f32 v[4:5], v[8:9], v[4:5]
	v_mov_b32_e32 v6, v70
	v_mov_b32_e32 v7, v69
	v_pk_add_f32 v[50:51], v[10:11], v[52:53]
	v_pk_fma_f32 v[10:11], v[196:197], s[8:9], v[36:37] op_sel:[0,0,1] op_sel_hi:[1,0,0]
	v_pk_fma_f32 v[36:37], v[196:197], s[8:9], v[36:37] op_sel:[0,0,1] op_sel_hi:[1,0,0] neg_lo:[0,0,1] neg_hi:[0,0,1]
	v_pk_fma_f32 v[108:109], v[186:187], s[22:23], v[38:39]
	v_pk_add_f32 v[110:111], v[6:7], v[4:5]
	v_pk_fma_f32 v[4:5], v[186:187], s[22:23], v[38:39] neg_lo:[0,0,1] neg_hi:[0,0,1]
	v_mov_b32_e32 v38, v10
	v_mov_b32_e32 v39, v37
	v_pk_mul_f32 v[40:41], v[210:211], s[34:35] op_sel_hi:[1,0]
	v_pk_add_f32 v[52:53], v[8:9], v[38:39]
	v_pk_fma_f32 v[38:39], v[200:201], s[12:13], v[40:41] op_sel:[0,0,1] op_sel_hi:[1,0,0]
	v_pk_fma_f32 v[40:41], v[200:201], s[12:13], v[40:41] op_sel:[0,0,1] op_sel_hi:[1,0,0] neg_lo:[0,0,1] neg_hi:[0,0,1]
	s_mov_b32 s51, s16
	v_mov_b32_e32 v56, v38
	v_mov_b32_e32 v57, v41
	;; [unrolled: 1-line block ×4, first 2 shown]
	s_mov_b32 s49, s10
	v_mov_b32_e32 v231, v109
	v_mov_b32_e32 v109, v5
	v_pk_mul_f32 v[4:5], v[186:187], s[50:51]
	v_pk_add_f32 v[52:53], v[56:57], v[52:53]
	v_mov_b32_e32 v88, v22
	v_mov_b32_e32 v89, v19
	v_pk_mul_f32 v[24:25], v[42:43], s[48:49]
	s_mov_b32 s11, s48
	s_mov_b32 s37, s14
	v_pk_fma_f32 v[6:7], v[0:1], s[58:59], v[4:5]
	v_pk_fma_f32 v[112:113], v[0:1], s[58:59], v[4:5] neg_lo:[1,0,0] neg_hi:[1,0,0]
	v_pk_add_f32 v[48:49], v[48:49], v[52:53]
	v_mov_b32_e32 v90, v147
	v_mov_b32_e32 v91, v139
	s_mov_b32 s45, s14
	v_pk_fma_f32 v[26:27], v[2:3], s[10:11], v[24:25]
	v_pk_fma_f32 v[102:103], v[2:3], s[10:11], v[24:25] neg_lo:[1,0,0] neg_hi:[1,0,0]
	v_pk_mul_f32 v[28:29], v[44:45], s[36:37]
	s_mov_b32 s39, s0
	v_mov_b32_e32 v112, v6
	v_pk_add_f32 v[48:49], v[88:89], v[48:49]
	v_pk_fma_f32 v[184:185], v[90:91], s[44:45], v[92:93] neg_lo:[1,0,0] neg_hi:[1,0,0]
	v_pk_fma_f32 v[94:95], v[90:91], s[44:45], v[92:93]
	v_mov_b32_e32 v96, v149
	v_mov_b32_e32 v97, v145
	v_mov_b32_e32 v102, v26
	v_pk_fma_f32 v[30:31], v[12:13], s[56:57], v[28:29]
	v_pk_fma_f32 v[104:105], v[12:13], s[56:57], v[28:29] neg_lo:[1,0,0] neg_hi:[1,0,0]
	v_pk_mul_f32 v[32:33], v[46:47], s[38:39]
	v_pk_fma_f32 v[52:53], v[90:91], s[44:45], v[92:93] neg_lo:[0,0,1] neg_hi:[0,0,1]
	v_pk_add_f32 v[48:49], v[112:113], v[48:49]
	v_mov_b32_e32 v185, v95
	v_pk_fma_f32 v[188:189], v[96:97], s[34:35], v[98:99] neg_lo:[1,0,0] neg_hi:[1,0,0]
	v_pk_fma_f32 v[100:101], v[96:97], s[34:35], v[98:99]
	v_mov_b32_e32 v104, v30
	v_pk_fma_f32 v[34:35], v[14:15], s[0:1], v[32:33]
	v_pk_fma_f32 v[106:107], v[14:15], s[0:1], v[32:33] neg_lo:[1,0,0] neg_hi:[1,0,0]
	v_mov_b32_e32 v95, v53
	v_pk_fma_f32 v[56:57], v[96:97], s[34:35], v[98:99] neg_lo:[0,0,1] neg_hi:[0,0,1]
	v_pk_add_f32 v[48:49], v[102:103], v[48:49]
	v_mov_b32_e32 v189, v101
	v_mov_b32_e32 v106, v34
	v_pk_add_f32 v[52:53], v[94:95], v[110:111]
	v_mov_b32_e32 v101, v57
	v_pk_add_f32 v[48:49], v[104:105], v[48:49]
	v_pk_mul_f32 v[72:73], v[204:205], s[44:45] op_sel_hi:[1,0]
	v_pk_add_f32 v[52:53], v[100:101], v[52:53]
	v_pk_add_f32 v[74:75], v[106:107], v[48:49]
	v_pk_fma_f32 v[104:105], v[196:197], s[14:15], v[72:73] op_sel:[0,0,1] op_sel_hi:[1,0,0]
	v_pk_fma_f32 v[106:107], v[196:197], s[14:15], v[72:73] op_sel:[0,0,1] op_sel_hi:[1,0,0] neg_lo:[0,0,1] neg_hi:[0,0,1]
	v_pk_mul_f32 v[82:83], v[210:211], s[24:25] op_sel_hi:[1,0]
	v_pk_add_f32 v[52:53], v[108:109], v[52:53]
	v_mov_b32_e32 v72, v104
	v_mov_b32_e32 v73, v107
	v_pk_fma_f32 v[108:109], v[200:201], s[18:19], v[82:83] op_sel:[0,0,1] op_sel_hi:[1,0,0]
	v_pk_fma_f32 v[110:111], v[200:201], s[18:19], v[82:83] op_sel:[0,0,1] op_sel_hi:[1,0,0] neg_lo:[0,0,1] neg_hi:[0,0,1]
	v_pk_add_f32 v[72:73], v[8:9], v[72:73]
	v_mov_b32_e32 v82, v108
	v_mov_b32_e32 v83, v111
	v_pk_add_f32 v[52:53], v[84:85], v[52:53]
	v_pk_add_f32 v[82:83], v[82:83], v[72:73]
	v_pk_mul_f32 v[72:73], v[146:147], s[54:55] op_sel_hi:[1,0]
	v_pk_add_f32 v[52:53], v[86:87], v[52:53]
	s_mov_b32 s43, s8
	v_pk_fma_f32 v[116:117], v[138:139], s[20:21], v[72:73] op_sel:[0,0,1] op_sel_hi:[1,0,0]
	v_pk_fma_f32 v[112:113], v[138:139], s[20:21], v[72:73] op_sel:[0,0,1] op_sel_hi:[1,0,0] neg_lo:[0,0,1] neg_hi:[0,0,1]
	v_pk_mul_f32 v[86:87], v[148:149], s[48:49] op_sel_hi:[1,0]
	v_pk_add_f32 v[52:53], v[54:55], v[52:53]
	v_accvgpr_read_b32 v10, a36
	v_pk_mul_f32 v[48:49], v[186:187], s[42:43]
	s_mov_b32 s9, s42
	s_mov_b32 s27, s0
	v_mov_b32_e32 v84, v116
	v_mov_b32_e32 v85, v113
	v_pk_fma_f32 v[72:73], v[144:145], s[10:11], v[86:87] op_sel:[0,0,1] op_sel_hi:[1,0,0]
	v_pk_fma_f32 v[134:135], v[144:145], s[10:11], v[86:87] op_sel:[0,0,1] op_sel_hi:[1,0,0] neg_lo:[0,0,1] neg_hi:[0,0,1]
	s_barrier
	ds_write2_b64 v10, v[50:51], v[52:53] offset1:17
	v_pk_fma_f32 v[50:51], v[0:1], s[8:9], v[48:49]
	v_pk_fma_f32 v[52:53], v[0:1], s[8:9], v[48:49] neg_lo:[1,0,0] neg_hi:[1,0,0]
	v_pk_mul_f32 v[54:55], v[42:43], s[26:27]
	v_mov_b32_e32 v86, v72
	v_mov_b32_e32 v87, v135
	v_pk_add_f32 v[82:83], v[84:85], v[82:83]
	v_mov_b32_e32 v52, v50
	v_pk_fma_f32 v[56:57], v[2:3], s[62:63], v[54:55]
	v_pk_fma_f32 v[76:77], v[2:3], s[62:63], v[54:55] neg_lo:[1,0,0] neg_hi:[1,0,0]
	v_pk_mul_f32 v[60:61], v[44:45], s[34:35]
	v_pk_add_f32 v[82:83], v[86:87], v[82:83]
	v_mov_b32_e32 v76, v56
	v_pk_fma_f32 v[58:59], v[12:13], s[12:13], v[60:61]
	v_pk_fma_f32 v[78:79], v[12:13], s[12:13], v[60:61] neg_lo:[1,0,0] neg_hi:[1,0,0]
	v_pk_mul_f32 v[102:103], v[46:47], s[28:29]
	v_pk_add_f32 v[52:53], v[52:53], v[82:83]
	v_mov_b32_e32 v78, v58
	v_pk_fma_f32 v[62:63], v[14:15], s[16:17], v[102:103]
	v_pk_fma_f32 v[80:81], v[14:15], s[16:17], v[102:103] neg_lo:[1,0,0] neg_hi:[1,0,0]
	v_pk_add_f32 v[52:53], v[76:77], v[52:53]
	v_mov_b32_e32 v80, v62
	v_pk_add_f32 v[52:53], v[78:79], v[52:53]
	v_pk_mul_f32 v[82:83], v[210:211], s[30:31] op_sel_hi:[1,0]
	v_pk_add_f32 v[52:53], v[80:81], v[52:53]
	v_pk_mul_f32 v[80:81], v[204:205], s[34:35] op_sel_hi:[1,0]
	v_pk_fma_f32 v[92:93], v[200:201], s[20:21], v[82:83] op_sel:[0,0,1] op_sel_hi:[1,0,0]
	v_pk_fma_f32 v[168:169], v[196:197], s[12:13], v[80:81] op_sel:[0,0,1] op_sel_hi:[1,0,0]
	v_pk_fma_f32 v[170:171], v[196:197], s[12:13], v[80:81] op_sel:[0,0,1] op_sel_hi:[1,0,0] neg_lo:[0,0,1] neg_hi:[0,0,1]
	v_mov_b32_e32 v80, v168
	v_mov_b32_e32 v81, v171
	v_pk_fma_f32 v[174:175], v[200:201], s[20:21], v[82:83] op_sel:[0,0,1] op_sel_hi:[1,0,0] neg_lo:[0,0,1] neg_hi:[0,0,1]
	v_pk_add_f32 v[80:81], v[8:9], v[80:81]
	v_mov_b32_e32 v82, v92
	v_mov_b32_e32 v83, v175
	v_pk_add_f32 v[80:81], v[82:83], v[80:81]
	v_pk_mul_f32 v[82:83], v[146:147], s[48:49] op_sel_hi:[1,0]
	v_pk_mul_f32 v[84:85], v[148:149], s[38:39] op_sel_hi:[1,0]
	v_pk_fma_f32 v[178:179], v[138:139], s[10:11], v[82:83] op_sel:[0,0,1] op_sel_hi:[1,0,0]
	v_pk_fma_f32 v[176:177], v[138:139], s[10:11], v[82:83] op_sel:[0,0,1] op_sel_hi:[1,0,0] neg_lo:[0,0,1] neg_hi:[0,0,1]
	v_mov_b32_e32 v82, v178
	v_mov_b32_e32 v83, v177
	v_pk_fma_f32 v[182:183], v[144:145], s[0:1], v[84:85] op_sel:[0,0,1] op_sel_hi:[1,0,0]
	v_pk_fma_f32 v[180:181], v[144:145], s[0:1], v[84:85] op_sel:[0,0,1] op_sel_hi:[1,0,0] neg_lo:[0,0,1] neg_hi:[0,0,1]
	v_mov_b32_e32 v84, v182
	v_mov_b32_e32 v85, v181
	v_pk_add_f32 v[80:81], v[82:83], v[80:81]
	v_pk_mul_f32 v[86:87], v[210:211], s[50:51] op_sel_hi:[1,0]
	v_pk_add_f32 v[80:81], v[84:85], v[80:81]
	v_pk_mul_f32 v[84:85], v[204:205], s[22:23] op_sel_hi:[1,0]
	v_pk_fma_f32 v[218:219], v[200:201], s[16:17], v[86:87] op_sel:[0,0,1] op_sel_hi:[1,0,0]
	v_pk_fma_f32 v[214:215], v[196:197], s[10:11], v[84:85] op_sel:[0,0,1] op_sel_hi:[1,0,0]
	v_pk_fma_f32 v[216:217], v[196:197], s[10:11], v[84:85] op_sel:[0,0,1] op_sel_hi:[1,0,0] neg_lo:[0,0,1] neg_hi:[0,0,1]
	v_mov_b32_e32 v84, v214
	v_mov_b32_e32 v85, v217
	v_pk_fma_f32 v[220:221], v[200:201], s[16:17], v[86:87] op_sel:[0,0,1] op_sel_hi:[1,0,0] neg_lo:[0,0,1] neg_hi:[0,0,1]
	v_pk_mul_f32 v[154:155], v[186:187], s[44:45]
	v_pk_add_f32 v[84:85], v[8:9], v[84:85]
	v_mov_b32_e32 v86, v218
	v_mov_b32_e32 v87, v221
	ds_write2_b64 v10, v[74:75], v[52:53] offset0:34 offset1:51
	v_pk_fma_f32 v[152:153], v[0:1], s[14:15], v[154:155]
	v_pk_fma_f32 v[52:53], v[0:1], s[14:15], v[154:155] neg_lo:[1,0,0] neg_hi:[1,0,0]
	v_pk_mul_f32 v[158:159], v[42:43], s[28:29]
	s_mov_b32 s53, s18
	v_pk_add_f32 v[84:85], v[86:87], v[84:85]
	v_pk_mul_f32 v[86:87], v[146:147], s[42:43] op_sel_hi:[1,0]
	v_mov_b32_e32 v52, v152
	v_pk_fma_f32 v[156:157], v[2:3], s[16:17], v[158:159]
	v_pk_fma_f32 v[74:75], v[2:3], s[16:17], v[158:159] neg_lo:[1,0,0] neg_hi:[1,0,0]
	v_pk_mul_f32 v[160:161], v[44:45], s[52:53]
	s_mov_b32 s54, s18
	s_mov_b32 s55, s52
	v_pk_fma_f32 v[224:225], v[138:139], s[8:9], v[86:87] op_sel:[0,0,1] op_sel_hi:[1,0,0]
	v_pk_fma_f32 v[222:223], v[138:139], s[8:9], v[86:87] op_sel:[0,0,1] op_sel_hi:[1,0,0] neg_lo:[0,0,1] neg_hi:[0,0,1]
	v_pk_mul_f32 v[88:89], v[148:149], s[44:45] op_sel_hi:[1,0]
	v_mov_b32_e32 v74, v156
	v_pk_fma_f32 v[162:163], v[12:13], s[54:55], v[160:161]
	v_pk_fma_f32 v[76:77], v[12:13], s[54:55], v[160:161] neg_lo:[1,0,0] neg_hi:[1,0,0]
	v_pk_mul_f32 v[166:167], v[46:47], s[42:43]
	v_pk_add_f32 v[52:53], v[52:53], v[80:81]
	v_pk_mul_f32 v[192:193], v[186:187], s[30:31]
	s_mov_b32 s47, s12
	v_mov_b32_e32 v86, v224
	v_mov_b32_e32 v87, v223
	v_pk_fma_f32 v[228:229], v[144:145], s[14:15], v[88:89] op_sel:[0,0,1] op_sel_hi:[1,0,0]
	v_pk_fma_f32 v[226:227], v[144:145], s[14:15], v[88:89] op_sel:[0,0,1] op_sel_hi:[1,0,0] neg_lo:[0,0,1] neg_hi:[0,0,1]
	v_pk_mul_f32 v[100:101], v[204:205], s[24:25] op_sel_hi:[1,0]
	v_mov_b32_e32 v76, v162
	v_pk_fma_f32 v[164:165], v[14:15], s[8:9], v[166:167]
	v_pk_fma_f32 v[78:79], v[14:15], s[8:9], v[166:167] neg_lo:[1,0,0] neg_hi:[1,0,0]
	v_pk_add_f32 v[52:53], v[74:75], v[52:53]
	v_pk_fma_f32 v[190:191], v[0:1], s[20:21], v[192:193]
	v_pk_fma_f32 v[74:75], v[0:1], s[20:21], v[192:193] neg_lo:[1,0,0] neg_hi:[1,0,0]
	v_pk_mul_f32 v[194:195], v[42:43], s[46:47]
	v_mov_b32_e32 v88, v228
	v_mov_b32_e32 v89, v227
	v_pk_add_f32 v[84:85], v[86:87], v[84:85]
	v_pk_fma_f32 v[232:233], v[196:197], s[18:19], v[100:101] op_sel:[0,0,1] op_sel_hi:[1,0,0]
	v_pk_fma_f32 v[234:235], v[196:197], s[18:19], v[100:101] op_sel:[0,0,1] op_sel_hi:[1,0,0] neg_lo:[0,0,1] neg_hi:[0,0,1]
	v_pk_mul_f32 v[114:115], v[210:211], s[48:49] op_sel_hi:[1,0]
	v_mov_b32_e32 v78, v164
	v_pk_add_f32 v[52:53], v[76:77], v[52:53]
	v_mov_b32_e32 v74, v190
	v_pk_fma_f32 v[198:199], v[2:3], s[64:65], v[194:195]
	v_pk_fma_f32 v[76:77], v[2:3], s[64:65], v[194:195] neg_lo:[1,0,0] neg_hi:[1,0,0]
	v_pk_mul_f32 v[206:207], v[44:45], s[26:27]
	v_pk_add_f32 v[84:85], v[88:89], v[84:85]
	v_mov_b32_e32 v100, v232
	v_mov_b32_e32 v101, v235
	v_pk_fma_f32 v[236:237], v[200:201], s[10:11], v[114:115] op_sel:[0,0,1] op_sel_hi:[1,0,0]
	v_pk_fma_f32 v[238:239], v[200:201], s[10:11], v[114:115] op_sel:[0,0,1] op_sel_hi:[1,0,0] neg_lo:[0,0,1] neg_hi:[0,0,1]
	v_pk_add_f32 v[52:53], v[78:79], v[52:53]
	v_mov_b32_e32 v76, v198
	v_pk_fma_f32 v[202:203], v[12:13], s[62:63], v[206:207]
	v_pk_fma_f32 v[78:79], v[12:13], s[62:63], v[206:207] neg_lo:[1,0,0] neg_hi:[1,0,0]
	v_pk_mul_f32 v[212:213], v[46:47], s[24:25]
	v_pk_add_f32 v[74:75], v[74:75], v[84:85]
	v_pk_add_f32 v[100:101], v[8:9], v[100:101]
	v_mov_b32_e32 v114, v236
	v_mov_b32_e32 v115, v239
	;; [unrolled: 1-line block ×3, first 2 shown]
	v_pk_fma_f32 v[82:83], v[14:15], s[18:19], v[212:213]
	v_pk_fma_f32 v[80:81], v[14:15], s[18:19], v[212:213] neg_lo:[1,0,0] neg_hi:[1,0,0]
	v_pk_add_f32 v[74:75], v[76:77], v[74:75]
	v_pk_add_f32 v[100:101], v[114:115], v[100:101]
	v_pk_mul_f32 v[114:115], v[146:147], s[26:27] op_sel_hi:[1,0]
	v_mov_b32_e32 v80, v82
	v_pk_add_f32 v[74:75], v[78:79], v[74:75]
	v_pk_fma_f32 v[242:243], v[138:139], s[0:1], v[114:115] op_sel:[0,0,1] op_sel_hi:[1,0,0]
	v_pk_fma_f32 v[240:241], v[138:139], s[0:1], v[114:115] op_sel:[0,0,1] op_sel_hi:[1,0,0] neg_lo:[0,0,1] neg_hi:[0,0,1]
	v_pk_mul_f32 v[118:119], v[148:149], s[28:29] op_sel_hi:[1,0]
	v_pk_add_f32 v[74:75], v[80:81], v[74:75]
	v_pk_mul_f32 v[76:77], v[186:187], s[46:47]
	s_mov_b32 s41, s8
	v_mov_b32_e32 v114, v242
	v_mov_b32_e32 v115, v241
	v_pk_fma_f32 v[246:247], v[144:145], s[16:17], v[118:119] op_sel:[0,0,1] op_sel_hi:[1,0,0]
	v_pk_fma_f32 v[244:245], v[144:145], s[16:17], v[118:119] op_sel:[0,0,1] op_sel_hi:[1,0,0] neg_lo:[0,0,1] neg_hi:[0,0,1]
	ds_write2_b64 v10, v[52:53], v[74:75] offset0:68 offset1:85
	v_pk_fma_f32 v[74:75], v[0:1], s[64:65], v[76:77]
	v_pk_fma_f32 v[52:53], v[0:1], s[64:65], v[76:77] neg_lo:[1,0,0] neg_hi:[1,0,0]
	v_pk_mul_f32 v[78:79], v[42:43], s[40:41]
	s_mov_b32 s44, s8
	s_mov_b32 s45, s40
	v_mov_b32_e32 v118, v246
	v_mov_b32_e32 v119, v245
	v_pk_add_f32 v[100:101], v[114:115], v[100:101]
	v_mov_b32_e32 v52, v74
	v_pk_fma_f32 v[94:95], v[2:3], s[44:45], v[78:79]
	v_pk_fma_f32 v[80:81], v[2:3], s[44:45], v[78:79] neg_lo:[1,0,0] neg_hi:[1,0,0]
	v_pk_mul_f32 v[86:87], v[44:45], s[30:31]
	v_pk_add_f32 v[100:101], v[118:119], v[100:101]
	v_mov_b32_e32 v80, v94
	v_pk_fma_f32 v[84:85], v[12:13], s[20:21], v[86:87]
	v_pk_fma_f32 v[96:97], v[12:13], s[20:21], v[86:87] neg_lo:[1,0,0] neg_hi:[1,0,0]
	v_pk_mul_f32 v[90:91], v[46:47], s[36:37]
	v_pk_add_f32 v[52:53], v[52:53], v[100:101]
	v_mov_b32_e32 v96, v84
	v_pk_fma_f32 v[88:89], v[14:15], s[56:57], v[90:91]
	v_pk_fma_f32 v[98:99], v[14:15], s[56:57], v[90:91] neg_lo:[1,0,0] neg_hi:[1,0,0]
	v_pk_add_f32 v[52:53], v[80:81], v[52:53]
	v_pk_mul_f32 v[80:81], v[204:205], s[28:29] op_sel_hi:[1,0]
	v_mov_b32_e32 v98, v88
	v_pk_add_f32 v[52:53], v[96:97], v[52:53]
	v_pk_fma_f32 v[96:97], v[196:197], s[16:17], v[80:81] op_sel:[0,0,1] op_sel_hi:[1,0,0]
	v_pk_fma_f32 v[80:81], v[196:197], s[16:17], v[80:81] op_sel:[0,0,1] op_sel_hi:[1,0,0] neg_lo:[0,0,1] neg_hi:[0,0,1]
	v_pk_mul_f32 v[100:101], v[210:211], s[36:37] op_sel_hi:[1,0]
	v_pk_add_f32 v[52:53], v[98:99], v[52:53]
	v_mov_b32_e32 v98, v96
	v_mov_b32_e32 v99, v81
	v_pk_fma_f32 v[114:115], v[200:201], s[14:15], v[100:101] op_sel:[0,0,1] op_sel_hi:[1,0,0]
	v_pk_fma_f32 v[100:101], v[200:201], s[14:15], v[100:101] op_sel:[0,0,1] op_sel_hi:[1,0,0] neg_lo:[0,0,1] neg_hi:[0,0,1]
	v_pk_add_f32 v[98:99], v[8:9], v[98:99]
	v_mov_b32_e32 v118, v114
	v_mov_b32_e32 v119, v101
	v_pk_add_f32 v[98:99], v[118:119], v[98:99]
	v_pk_mul_f32 v[118:119], v[146:147], s[34:35] op_sel_hi:[1,0]
	v_mov_b32_e32 v65, v67
	v_pk_fma_f32 v[120:121], v[138:139], s[12:13], v[118:119] op_sel:[0,0,1] op_sel_hi:[1,0,0]
	v_pk_fma_f32 v[118:119], v[138:139], s[12:13], v[118:119] op_sel:[0,0,1] op_sel_hi:[1,0,0] neg_lo:[0,0,1] neg_hi:[0,0,1]
	v_mov_b32_e32 v122, v120
	v_mov_b32_e32 v123, v119
	v_pk_add_f32 v[98:99], v[122:123], v[98:99]
	v_pk_mul_f32 v[122:123], v[148:149], s[52:53] op_sel_hi:[1,0]
	v_mov_b32_e32 v69, v71
	v_pk_fma_f32 v[124:125], v[144:145], s[18:19], v[122:123] op_sel:[0,0,1] op_sel_hi:[1,0,0]
	v_pk_fma_f32 v[122:123], v[144:145], s[18:19], v[122:123] op_sel:[0,0,1] op_sel_hi:[1,0,0] neg_lo:[0,0,1] neg_hi:[0,0,1]
	v_mov_b32_e32 v126, v124
	v_mov_b32_e32 v127, v123
	v_pk_add_f32 v[98:99], v[126:127], v[98:99]
	v_pk_mul_f32 v[126:127], v[186:187], s[26:27]
	v_pk_fma_f32 v[76:77], v[0:1], s[64:65], v[76:77] neg_lo:[0,0,1] neg_hi:[0,0,1]
	v_pk_fma_f32 v[128:129], v[0:1], s[62:63], v[126:127]
	v_pk_fma_f32 v[130:131], v[0:1], s[62:63], v[126:127] neg_lo:[1,0,0] neg_hi:[1,0,0]
	v_mov_b32_e32 v77, v75
	v_mov_b32_e32 v130, v128
	v_pk_add_f32 v[98:99], v[130:131], v[98:99]
	v_pk_mul_f32 v[130:131], v[42:43], s[30:31]
	v_pk_mul_f32 v[42:43], v[42:43], s[36:37]
	v_pk_fma_f32 v[132:133], v[2:3], s[20:21], v[130:131]
	v_pk_fma_f32 v[136:137], v[2:3], s[20:21], v[130:131] neg_lo:[1,0,0] neg_hi:[1,0,0]
	v_pk_fma_f32 v[74:75], v[2:3], s[44:45], v[78:79] neg_lo:[0,0,1] neg_hi:[0,0,1]
	v_mov_b32_e32 v136, v132
	v_pk_add_f32 v[98:99], v[136:137], v[98:99]
	v_pk_mul_f32 v[136:137], v[44:45], s[42:43]
	v_pk_mul_f32 v[44:45], v[44:45], s[22:23]
	v_pk_fma_f32 v[208:209], v[12:13], s[8:9], v[136:137]
	v_pk_fma_f32 v[248:249], v[12:13], s[8:9], v[136:137] neg_lo:[1,0,0] neg_hi:[1,0,0]
	v_pk_fma_f32 v[78:79], v[12:13], s[20:21], v[86:87] neg_lo:[0,0,1] neg_hi:[0,0,1]
	v_mov_b32_e32 v248, v208
	v_pk_add_f32 v[98:99], v[248:249], v[98:99]
	v_pk_mul_f32 v[248:249], v[46:47], s[22:23]
	v_pk_mul_f32 v[46:47], v[46:47], s[46:47]
	v_pk_fma_f32 v[250:251], v[14:15], s[60:61], v[248:249]
	v_pk_fma_f32 v[252:253], v[14:15], s[60:61], v[248:249] neg_lo:[1,0,0] neg_hi:[1,0,0]
	v_mov_b32_e32 v235, v233
	v_mov_b32_e32 v252, v250
	v_pk_add_f32 v[98:99], v[252:253], v[98:99]
	ds_write2_b64 v10, v[52:53], v[98:99] offset0:102 offset1:119
	v_pk_add_f32 v[52:53], v[8:9], v[64:65]
	v_mov_b32_e32 v81, v97
	v_pk_add_f32 v[52:53], v[68:69], v[52:53]
	v_mov_b32_e32 v79, v85
	v_pk_add_f32 v[52:53], v[184:185], v[52:53]
	v_pk_fma_f32 v[184:185], v[2:3], s[56:57], v[42:43] neg_lo:[1,0,0] neg_hi:[1,0,0]
	v_pk_add_f32 v[52:53], v[188:189], v[52:53]
	v_pk_fma_f32 v[188:189], v[14:15], s[64:65], v[46:47] neg_lo:[1,0,0] neg_hi:[1,0,0]
	v_pk_add_f32 v[52:53], v[230:231], v[52:53]
	v_pk_add_f32 v[84:85], v[8:9], v[234:235]
	;; [unrolled: 1-line block ×3, first 2 shown]
	v_mov_b32_e32 v239, v237
	v_pk_add_f32 v[52:53], v[142:143], v[52:53]
	v_pk_add_f32 v[80:81], v[8:9], v[80:81]
	;; [unrolled: 1-line block ×3, first 2 shown]
	v_pk_mul_f32 v[52:53], v[204:205], s[30:31] op_sel_hi:[1,0]
	v_mov_b32_e32 v101, v115
	v_pk_fma_f32 v[64:65], v[196:197], s[20:21], v[52:53] op_sel:[0,0,1] op_sel_hi:[1,0,0]
	v_pk_fma_f32 v[66:67], v[196:197], s[20:21], v[52:53] op_sel:[0,0,1] op_sel_hi:[1,0,0] neg_lo:[0,0,1] neg_hi:[0,0,1]
	v_pk_mul_f32 v[52:53], v[210:211], s[38:39] op_sel_hi:[1,0]
	v_pk_add_f32 v[84:85], v[238:239], v[84:85]
	v_pk_fma_f32 v[68:69], v[200:201], s[0:1], v[52:53] op_sel:[0,0,1] op_sel_hi:[1,0,0]
	v_pk_fma_f32 v[70:71], v[200:201], s[0:1], v[52:53] op_sel:[0,0,1] op_sel_hi:[1,0,0] neg_lo:[0,0,1] neg_hi:[0,0,1]
	v_mov_b32_e32 v52, v64
	v_mov_b32_e32 v53, v67
	v_pk_add_f32 v[52:53], v[8:9], v[52:53]
	v_mov_b32_e32 v98, v68
	v_mov_b32_e32 v99, v71
	v_pk_add_f32 v[52:53], v[98:99], v[52:53]
	v_pk_mul_f32 v[98:99], v[146:147], s[28:29] op_sel_hi:[1,0]
	v_mov_b32_e32 v67, v65
	v_pk_fma_f32 v[142:143], v[138:139], s[16:17], v[98:99] op_sel:[0,0,1] op_sel_hi:[1,0,0]
	v_pk_fma_f32 v[98:99], v[138:139], s[16:17], v[98:99] op_sel:[0,0,1] op_sel_hi:[1,0,0] neg_lo:[0,0,1] neg_hi:[0,0,1]
	v_pk_mul_f32 v[138:139], v[148:149], s[42:43] op_sel_hi:[1,0]
	v_mov_b32_e32 v71, v69
	v_pk_fma_f32 v[146:147], v[144:145], s[8:9], v[138:139] op_sel:[0,0,1] op_sel_hi:[1,0,0]
	v_pk_fma_f32 v[138:139], v[144:145], s[8:9], v[138:139] op_sel:[0,0,1] op_sel_hi:[1,0,0] neg_lo:[0,0,1] neg_hi:[0,0,1]
	v_mov_b32_e32 v144, v142
	v_mov_b32_e32 v145, v99
	v_pk_add_f32 v[52:53], v[144:145], v[52:53]
	v_mov_b32_e32 v144, v146
	v_mov_b32_e32 v145, v139
	v_pk_add_f32 v[52:53], v[144:145], v[52:53]
	v_pk_mul_f32 v[144:145], v[186:187], s[24:25]
	v_pk_fma_f32 v[186:187], v[12:13], s[60:61], v[44:45] neg_lo:[1,0,0] neg_hi:[1,0,0]
	v_pk_fma_f32 v[148:149], v[0:1], s[18:19], v[144:145]
	v_pk_fma_f32 v[150:151], v[0:1], s[18:19], v[144:145] neg_lo:[1,0,0] neg_hi:[1,0,0]
	v_pk_fma_f32 v[144:145], v[0:1], s[18:19], v[144:145] neg_lo:[0,0,1] neg_hi:[0,0,1]
	v_mov_b32_e32 v150, v148
	v_pk_add_f32 v[52:53], v[150:151], v[52:53]
	v_pk_fma_f32 v[150:151], v[2:3], s[56:57], v[42:43]
	v_mov_b32_e32 v145, v149
	v_mov_b32_e32 v184, v150
	v_pk_fma_f32 v[148:149], v[2:3], s[56:57], v[42:43] neg_lo:[0,0,1] neg_hi:[0,0,1]
	v_pk_add_f32 v[52:53], v[184:185], v[52:53]
	v_pk_fma_f32 v[184:185], v[12:13], s[60:61], v[44:45]
	v_mov_b32_e32 v149, v151
	v_pk_fma_f32 v[150:151], v[12:13], s[60:61], v[44:45] neg_lo:[0,0,1] neg_hi:[0,0,1]
	v_pk_add_f32 v[44:45], v[8:9], v[66:67]
	v_mov_b32_e32 v99, v143
	v_pk_add_f32 v[66:67], v[70:71], v[44:45]
	v_mov_b32_e32 v139, v147
	;; [unrolled: 2-line block ×3, first 2 shown]
	v_pk_add_f32 v[70:71], v[138:139], v[68:69]
	v_pk_add_f32 v[52:53], v[186:187], v[52:53]
	;; [unrolled: 1-line block ×3, first 2 shown]
	v_pk_fma_f32 v[186:187], v[14:15], s[64:65], v[46:47]
	v_mov_b32_e32 v151, v185
	v_pk_fma_f32 v[184:185], v[14:15], s[64:65], v[46:47] neg_lo:[0,0,1] neg_hi:[0,0,1]
	v_pk_add_f32 v[70:71], v[148:149], v[70:71]
	v_mov_b32_e32 v188, v186
	v_mov_b32_e32 v185, v187
	v_pk_add_f32 v[70:71], v[150:151], v[70:71]
	v_mov_b32_e32 v241, v243
	v_pk_add_f32 v[188:189], v[188:189], v[52:53]
	v_pk_add_f32 v[70:71], v[184:185], v[70:71]
	;; [unrolled: 1-line block ×3, first 2 shown]
	v_mov_b32_e32 v119, v121
	v_mov_b32_e32 v245, v247
	v_pk_add_f32 v[84:85], v[240:241], v[84:85]
	ds_write2_b64 v10, v[188:189], v[70:71] offset0:136 offset1:153
	v_pk_fma_f32 v[70:71], v[0:1], s[62:63], v[126:127] neg_lo:[0,0,1] neg_hi:[0,0,1]
	v_mov_b32_e32 v123, v125
	v_pk_add_f32 v[80:81], v[118:119], v[80:81]
	v_pk_add_f32 v[84:85], v[244:245], v[84:85]
	v_mov_b32_e32 v71, v129
	v_pk_fma_f32 v[98:99], v[2:3], s[20:21], v[130:131] neg_lo:[0,0,1] neg_hi:[0,0,1]
	v_pk_add_f32 v[80:81], v[122:123], v[80:81]
	v_mov_b32_e32 v75, v95
	v_pk_add_f32 v[76:77], v[76:77], v[84:85]
	v_mov_b32_e32 v99, v133
	v_pk_fma_f32 v[126:127], v[12:13], s[8:9], v[136:137] neg_lo:[0,0,1] neg_hi:[0,0,1]
	v_pk_add_f32 v[70:71], v[70:71], v[80:81]
	v_pk_fma_f32 v[80:81], v[14:15], s[56:57], v[90:91] neg_lo:[0,0,1] neg_hi:[0,0,1]
	v_pk_add_f32 v[74:75], v[74:75], v[76:77]
	v_mov_b32_e32 v127, v209
	v_pk_fma_f32 v[128:129], v[14:15], s[60:61], v[248:249] neg_lo:[0,0,1] neg_hi:[0,0,1]
	v_pk_add_f32 v[70:71], v[98:99], v[70:71]
	v_mov_b32_e32 v81, v89
	v_pk_add_f32 v[74:75], v[78:79], v[74:75]
	v_mov_b32_e32 v217, v215
	v_mov_b32_e32 v129, v251
	v_pk_add_f32 v[70:71], v[126:127], v[70:71]
	v_pk_add_f32 v[74:75], v[80:81], v[74:75]
	;; [unrolled: 1-line block ×3, first 2 shown]
	v_mov_b32_e32 v221, v219
	v_pk_add_f32 v[70:71], v[128:129], v[70:71]
	v_pk_add_f32 v[80:81], v[220:221], v[80:81]
	v_mov_b32_e32 v223, v225
	v_pk_fma_f32 v[48:49], v[0:1], s[8:9], v[48:49] neg_lo:[0,0,1] neg_hi:[0,0,1]
	ds_write2_b64 v10, v[70:71], v[74:75] offset0:170 offset1:187
	v_pk_fma_f32 v[70:71], v[0:1], s[20:21], v[192:193] neg_lo:[0,0,1] neg_hi:[0,0,1]
	v_pk_fma_f32 v[78:79], v[14:15], s[18:19], v[212:213] neg_lo:[0,0,1] neg_hi:[0,0,1]
	v_mov_b32_e32 v227, v229
	v_pk_add_f32 v[80:81], v[222:223], v[80:81]
	v_mov_b32_e32 v171, v169
	v_mov_b32_e32 v49, v51
	v_pk_fma_f32 v[50:51], v[2:3], s[62:63], v[54:55] neg_lo:[0,0,1] neg_hi:[0,0,1]
	v_pk_fma_f32 v[54:55], v[12:13], s[12:13], v[60:61] neg_lo:[0,0,1] neg_hi:[0,0,1]
	v_mov_b32_e32 v107, v105
	v_mov_b32_e32 v37, v11
	;; [unrolled: 1-line block ×3, first 2 shown]
	v_pk_fma_f32 v[74:75], v[2:3], s[64:65], v[194:195] neg_lo:[0,0,1] neg_hi:[0,0,1]
	v_mov_b32_e32 v79, v83
	v_pk_add_f32 v[80:81], v[226:227], v[80:81]
	v_pk_add_f32 v[82:83], v[8:9], v[170:171]
	v_mov_b32_e32 v175, v93
	v_mov_b32_e32 v55, v59
	v_pk_add_f32 v[58:59], v[8:9], v[106:107]
	v_mov_b32_e32 v111, v109
	v_pk_add_f32 v[8:9], v[8:9], v[36:37]
	v_mov_b32_e32 v41, v39
	v_mov_b32_e32 v75, v199
	v_pk_fma_f32 v[76:77], v[12:13], s[62:63], v[206:207] neg_lo:[0,0,1] neg_hi:[0,0,1]
	v_pk_add_f32 v[70:71], v[70:71], v[80:81]
	v_pk_add_f32 v[82:83], v[174:175], v[82:83]
	v_mov_b32_e32 v177, v179
	v_pk_add_f32 v[58:59], v[110:111], v[58:59]
	v_mov_b32_e32 v113, v117
	v_mov_b32_e32 v17, v21
	v_pk_add_f32 v[8:9], v[40:41], v[8:9]
	v_mov_b32_e32 v77, v203
	v_pk_add_f32 v[70:71], v[74:75], v[70:71]
	v_pk_fma_f32 v[74:75], v[0:1], s[14:15], v[154:155] neg_lo:[0,0,1] neg_hi:[0,0,1]
	v_mov_b32_e32 v181, v183
	v_pk_add_f32 v[82:83], v[176:177], v[82:83]
	v_mov_b32_e32 v135, v73
	v_pk_add_f32 v[58:59], v[112:113], v[58:59]
	v_mov_b32_e32 v19, v23
	v_pk_fma_f32 v[0:1], v[0:1], s[58:59], v[4:5] neg_lo:[0,0,1] neg_hi:[0,0,1]
	v_pk_add_f32 v[8:9], v[16:17], v[8:9]
	v_pk_add_f32 v[70:71], v[76:77], v[70:71]
	v_mov_b32_e32 v75, v153
	v_pk_fma_f32 v[76:77], v[2:3], s[16:17], v[158:159] neg_lo:[0,0,1] neg_hi:[0,0,1]
	v_pk_add_f32 v[82:83], v[180:181], v[82:83]
	;; [unrolled: 4-line block ×4, first 2 shown]
	v_mov_b32_e32 v51, v57
	v_pk_add_f32 v[48:49], v[48:49], v[58:59]
	v_mov_b32_e32 v3, v27
	v_pk_fma_f32 v[4:5], v[12:13], s[56:57], v[28:29] neg_lo:[0,0,1] neg_hi:[0,0,1]
	v_pk_add_f32 v[0:1], v[0:1], v[8:9]
	v_mov_b32_e32 v79, v163
	v_pk_fma_f32 v[80:81], v[14:15], s[8:9], v[166:167] neg_lo:[0,0,1] neg_hi:[0,0,1]
	v_pk_add_f32 v[74:75], v[76:77], v[74:75]
	v_pk_fma_f32 v[56:57], v[14:15], s[16:17], v[102:103] neg_lo:[0,0,1] neg_hi:[0,0,1]
	v_pk_add_f32 v[48:49], v[50:51], v[48:49]
	v_mov_b32_e32 v5, v31
	v_pk_fma_f32 v[6:7], v[14:15], s[0:1], v[32:33] neg_lo:[0,0,1] neg_hi:[0,0,1]
	v_pk_add_f32 v[0:1], v[2:3], v[0:1]
	v_mov_b32_e32 v81, v165
	v_pk_add_f32 v[74:75], v[78:79], v[74:75]
	v_mov_b32_e32 v57, v63
	;; [unrolled: 2-line block ×3, first 2 shown]
	v_pk_add_f32 v[0:1], v[4:5], v[0:1]
	v_pk_add_f32 v[74:75], v[80:81], v[74:75]
	;; [unrolled: 1-line block ×4, first 2 shown]
	ds_write2_b64 v10, v[70:71], v[74:75] offset0:204 offset1:221
	ds_write2_b64 v10, v[48:49], v[0:1] offset0:238 offset1:255
	ds_write_b64 v10, v[140:141] offset:2176
	s_waitcnt lgkmcnt(0)
	s_barrier
	ds_read2_b64 v[24:27], v172 offset1:34
	ds_read2_b64 v[28:31], v173 offset0:33 offset1:67
	ds_read2_b64 v[16:19], v172 offset0:68 offset1:102
	;; [unrolled: 1-line block ×6, first 2 shown]
	v_add_u32_e32 v4, 0xc00, v172
	ds_read2_b64 v[4:7], v4 offset0:109 offset1:143
	v_accvgpr_read_b32 v205, a83
	v_accvgpr_read_b32 v197, a75
	;; [unrolled: 1-line block ×16, first 2 shown]
	v_mov_b32_e32 v42, v204
	v_mov_b32_e32 v43, v204
	;; [unrolled: 1-line block ×21, first 2 shown]
	v_add_u32_e32 v34, 0x660, v172
	v_mov_b32_e32 v32, v58
	v_mov_b32_e32 v33, v58
	;; [unrolled: 1-line block ×3, first 2 shown]
	v_add_u32_e32 v35, 0x770, v172
	s_and_saveexec_b64 s[0:1], vcc
	s_cbranch_execz .LBB0_7
; %bb.6:
	ds_read_b64 v[140:141], v172 offset:2176
	ds_read_b64 a[88:89], v172 offset:4488
.LBB0_7:
	s_or_b64 exec, exec, s[0:1]
	s_waitcnt lgkmcnt(6)
	v_pk_mul_f32 v[36:37], v[204:205], v[28:29]
	v_pk_mul_f32 v[38:39], v[196:197], v[30:31]
	v_pk_fma_f32 v[60:61], v[42:43], v[28:29], v[36:37] op_sel:[0,0,1] op_sel_hi:[1,1,0]
	v_pk_fma_f32 v[28:29], v[42:43], v[28:29], v[36:37] op_sel:[0,0,1] op_sel_hi:[1,1,0] neg_lo:[0,0,1] neg_hi:[0,0,1]
	v_accvgpr_read_b32 v36, a37
	v_mov_b32_e32 v61, v29
	v_pk_add_f32 v[28:29], v[24:25], v[60:61] neg_lo:[0,1] neg_hi:[0,1]
	s_waitcnt lgkmcnt(4)
	v_pk_mul_f32 v[40:41], v[186:187], v[20:21]
	v_pk_fma_f32 v[24:25], v[24:25], 2.0, v[28:29] op_sel_hi:[1,0,1] neg_lo:[0,0,1] neg_hi:[0,0,1]
	ds_write_b64 v172, v[24:25]
	ds_write_b64 v36, v[28:29] offset:2312
	v_pk_fma_f32 v[24:25], v[52:53], v[30:31], v[38:39] op_sel:[0,0,1] op_sel_hi:[1,1,0]
	v_pk_fma_f32 v[28:29], v[52:53], v[30:31], v[38:39] op_sel:[0,0,1] op_sel_hi:[1,1,0] neg_lo:[0,0,1] neg_hi:[0,0,1]
	v_pk_mul_f32 v[48:49], v[200:201], v[22:23]
	v_mov_b32_e32 v25, v29
	v_pk_add_f32 v[24:25], v[26:27], v[24:25] neg_lo:[0,1] neg_hi:[0,1]
	s_waitcnt lgkmcnt(4)
	v_pk_mul_f32 v[50:51], v[146:147], v[12:13]
	v_pk_fma_f32 v[26:27], v[26:27], 2.0, v[24:25] op_sel_hi:[1,0,1] neg_lo:[0,0,1] neg_hi:[0,0,1]
	ds_write_b64 v172, v[26:27] offset:272
	ds_write_b64 v36, v[24:25] offset:2584
	v_pk_fma_f32 v[24:25], v[46:47], v[20:21], v[40:41] op_sel:[0,0,1] op_sel_hi:[1,1,0]
	v_pk_fma_f32 v[20:21], v[46:47], v[20:21], v[40:41] op_sel:[0,0,1] op_sel_hi:[1,1,0] neg_lo:[0,0,1] neg_hi:[0,0,1]
	v_pk_mul_f32 v[54:55], v[142:143], v[14:15]
	v_mov_b32_e32 v25, v21
	v_pk_add_f32 v[20:21], v[16:17], v[24:25] neg_lo:[0,1] neg_hi:[0,1]
	s_waitcnt lgkmcnt(4)
	v_pk_mul_f32 v[56:57], v[138:139], v[4:5]
	v_pk_fma_f32 v[16:17], v[16:17], 2.0, v[20:21] op_sel_hi:[1,0,1] neg_lo:[0,0,1] neg_hi:[0,0,1]
	ds_write_b64 v172, v[16:17] offset:544
	ds_write_b64 v36, v[20:21] offset:2856
	v_pk_fma_f32 v[16:17], v[44:45], v[22:23], v[48:49] op_sel:[0,0,1] op_sel_hi:[1,1,0]
	v_pk_fma_f32 v[20:21], v[44:45], v[22:23], v[48:49] op_sel:[0,0,1] op_sel_hi:[1,1,0] neg_lo:[0,0,1] neg_hi:[0,0,1]
	v_pk_mul_f32 v[58:59], v[58:59], v[6:7]
	v_mov_b32_e32 v17, v21
	v_pk_add_f32 v[16:17], v[18:19], v[16:17] neg_lo:[0,1] neg_hi:[0,1]
	s_nop 0
	v_pk_fma_f32 v[18:19], v[18:19], 2.0, v[16:17] op_sel_hi:[1,0,1] neg_lo:[0,0,1] neg_hi:[0,0,1]
	ds_write_b64 v172, v[18:19] offset:816
	ds_write_b64 v36, v[16:17] offset:3128
	v_pk_fma_f32 v[16:17], v[64:65], v[12:13], v[50:51] op_sel:[0,0,1] op_sel_hi:[1,1,0]
	v_pk_fma_f32 v[12:13], v[64:65], v[12:13], v[50:51] op_sel:[0,0,1] op_sel_hi:[1,1,0] neg_lo:[0,0,1] neg_hi:[0,0,1]
	s_nop 0
	v_mov_b32_e32 v17, v13
	v_pk_add_f32 v[12:13], v[8:9], v[16:17] neg_lo:[0,1] neg_hi:[0,1]
	s_nop 0
	v_pk_fma_f32 v[8:9], v[8:9], 2.0, v[12:13] op_sel_hi:[1,0,1] neg_lo:[0,0,1] neg_hi:[0,0,1]
	ds_write_b64 v172, v[8:9] offset:1088
	ds_write_b64 v36, v[12:13] offset:3400
	v_pk_fma_f32 v[8:9], v[66:67], v[14:15], v[54:55] op_sel:[0,0,1] op_sel_hi:[1,1,0]
	v_pk_fma_f32 v[12:13], v[66:67], v[14:15], v[54:55] op_sel:[0,0,1] op_sel_hi:[1,1,0] neg_lo:[0,0,1] neg_hi:[0,0,1]
	s_nop 0
	;; [unrolled: 9-line block ×3, first 2 shown]
	v_mov_b32_e32 v9, v5
	v_pk_add_f32 v[4:5], v[0:1], v[8:9] neg_lo:[0,1] neg_hi:[0,1]
	ds_write_b64 v34, v[4:5] offset:2312
	v_pk_fma_f32 v[0:1], v[0:1], 2.0, v[4:5] op_sel_hi:[1,0,1] neg_lo:[0,0,1] neg_hi:[0,0,1]
	v_pk_fma_f32 v[4:5], v[32:33], v[6:7], v[58:59] op_sel:[0,0,1] op_sel_hi:[1,1,0]
	v_pk_fma_f32 v[6:7], v[32:33], v[6:7], v[58:59] op_sel:[0,0,1] op_sel_hi:[1,1,0] neg_lo:[0,0,1] neg_hi:[0,0,1]
	s_nop 0
	v_mov_b32_e32 v5, v7
	v_pk_add_f32 v[4:5], v[2:3], v[4:5] neg_lo:[0,1] neg_hi:[0,1]
	s_nop 0
	v_pk_fma_f32 v[2:3], v[2:3], 2.0, v[4:5] op_sel_hi:[1,0,1] neg_lo:[0,0,1] neg_hi:[0,0,1]
	ds_write2_b64 v172, v[0:1], v[2:3] offset0:204 offset1:238
	ds_write_b64 v35, v[4:5] offset:2312
	s_and_saveexec_b64 s[0:1], vcc
	s_cbranch_execz .LBB0_9
; %bb.8:
	v_accvgpr_read_b32 v4, a66
	v_accvgpr_read_b32 v6, a88
	;; [unrolled: 1-line block ×4, first 2 shown]
	v_pk_mul_f32 v[0:1], v[4:5], v[6:7] op_sel:[0,1]
	s_nop 0
	v_pk_fma_f32 v[2:3], v[4:5], v[6:7], v[0:1] op_sel:[0,0,1] op_sel_hi:[1,1,0]
	v_pk_fma_f32 v[0:1], v[4:5], v[6:7], v[0:1] op_sel:[0,0,1] op_sel_hi:[1,0,0] neg_lo:[1,0,0] neg_hi:[1,0,0]
	s_nop 0
	v_mov_b32_e32 v3, v1
	v_pk_add_f32 v[0:1], v[140:141], v[2:3] neg_lo:[0,1] neg_hi:[0,1]
	s_nop 0
	v_pk_fma_f32 v[2:3], v[140:141], 2.0, v[0:1] op_sel_hi:[1,0,1] neg_lo:[0,0,1] neg_hi:[0,0,1]
	ds_write_b64 v172, v[2:3] offset:2176
	ds_write_b64 v36, v[0:1] offset:4488
.LBB0_9:
	s_or_b64 exec, exec, s[0:1]
	v_accvgpr_read_b32 v10, a16
	s_waitcnt lgkmcnt(0)
	s_barrier
	ds_read2_b64 v[0:3], v172 offset1:34
	v_mad_u64_u32 v[6:7], s[0:1], s6, v10, 0
	v_mov_b32_e32 v8, v7
	v_mad_u64_u32 v[8:9], s[0:1], s7, v10, v[8:9]
	v_accvgpr_read_b32 v10, a34
	v_accvgpr_read_b32 v11, a35
	v_mov_b32_e32 v7, v8
	s_waitcnt lgkmcnt(0)
	v_mul_f32_e32 v8, v11, v1
	v_fmac_f32_e32 v8, v10, v0
	v_mul_f32_e32 v0, v11, v0
	s_mov_b32 s0, 0xd10d4986
	v_fma_f32 v0, v10, v1, -v0
	v_cvt_f64_f32_e32 v[8:9], v8
	s_mov_b32 s1, 0x3f5c5894
	v_cvt_f64_f32_e32 v[0:1], v0
	v_mul_f64 v[8:9], v[8:9], s[0:1]
	v_mul_f64 v[0:1], v[0:1], s[0:1]
	v_cvt_f32_f64_e32 v8, v[8:9]
	v_cvt_f32_f64_e32 v9, v[0:1]
	v_accvgpr_read_b32 v1, a104             ;  Reload Reuse
	v_accvgpr_read_b32 v0, a106             ;  Reload Reuse
	v_mov_b32_e32 v12, v0
	v_mov_b32_e32 v4, s2
	;; [unrolled: 1-line block ×3, first 2 shown]
	v_mad_u64_u32 v[0:1], s[2:3], s4, v12, 0
	v_mov_b32_e32 v10, v1
	v_mad_u64_u32 v[10:11], s[2:3], s5, v12, v[10:11]
	v_mov_b32_e32 v1, v10
	v_lshl_add_u64 v[4:5], v[6:7], 3, v[4:5]
	v_lshl_add_u64 v[4:5], v[0:1], 3, v[4:5]
	global_store_dwordx2 v[4:5], v[8:9], off
	v_accvgpr_read_b32 v8, a32
	v_accvgpr_read_b32 v9, a33
	v_mul_f32_e32 v0, v9, v3
	v_fmac_f32_e32 v0, v8, v2
	v_cvt_f64_f32_e32 v[0:1], v0
	v_mul_f64 v[0:1], v[0:1], s[0:1]
	v_cvt_f32_f64_e32 v6, v[0:1]
	v_mul_f32_e32 v0, v9, v2
	v_fma_f32 v0, v8, v3, -v0
	v_cvt_f64_f32_e32 v[0:1], v0
	v_mul_f64 v[0:1], v[0:1], s[0:1]
	v_cvt_f32_f64_e32 v7, v[0:1]
	ds_read2_b64 v[0:3], v172 offset0:68 offset1:102
	v_mov_b32_e32 v8, 0x110
	v_mad_u64_u32 v[4:5], s[2:3], s4, v8, v[4:5]
	s_mul_i32 s2, s5, 0x110
	v_accvgpr_read_b32 v10, a26
	v_add_u32_e32 v5, s2, v5
	v_accvgpr_read_b32 v11, a27
	global_store_dwordx2 v[4:5], v[6:7], off
	s_waitcnt lgkmcnt(0)
	v_mul_f32_e32 v6, v11, v1
	v_fmac_f32_e32 v6, v10, v0
	v_mul_f32_e32 v0, v11, v0
	v_fma_f32 v0, v10, v1, -v0
	v_cvt_f64_f32_e32 v[6:7], v6
	v_cvt_f64_f32_e32 v[0:1], v0
	v_accvgpr_read_b32 v10, a24
	v_mul_f64 v[6:7], v[6:7], s[0:1]
	v_mul_f64 v[0:1], v[0:1], s[0:1]
	v_accvgpr_read_b32 v11, a25
	v_cvt_f32_f64_e32 v6, v[6:7]
	v_cvt_f32_f64_e32 v7, v[0:1]
	v_mul_f32_e32 v0, v11, v3
	v_fmac_f32_e32 v0, v10, v2
	v_mad_u64_u32 v[4:5], s[6:7], s4, v8, v[4:5]
	v_cvt_f64_f32_e32 v[0:1], v0
	v_add_u32_e32 v5, s2, v5
	v_mul_f64 v[0:1], v[0:1], s[0:1]
	global_store_dwordx2 v[4:5], v[6:7], off
	v_cvt_f32_f64_e32 v6, v[0:1]
	v_mul_f32_e32 v0, v11, v2
	v_fma_f32 v0, v10, v3, -v0
	v_cvt_f64_f32_e32 v[0:1], v0
	v_mul_f64 v[0:1], v[0:1], s[0:1]
	v_cvt_f32_f64_e32 v7, v[0:1]
	ds_read2_b64 v[0:3], v172 offset0:136 offset1:170
	v_mad_u64_u32 v[4:5], s[6:7], s4, v8, v[4:5]
	v_accvgpr_read_b32 v10, a30
	v_add_u32_e32 v5, s2, v5
	v_accvgpr_read_b32 v11, a31
	global_store_dwordx2 v[4:5], v[6:7], off
	s_waitcnt lgkmcnt(0)
	v_mul_f32_e32 v6, v11, v1
	v_fmac_f32_e32 v6, v10, v0
	v_mul_f32_e32 v0, v11, v0
	v_fma_f32 v0, v10, v1, -v0
	v_cvt_f64_f32_e32 v[6:7], v6
	v_cvt_f64_f32_e32 v[0:1], v0
	v_accvgpr_read_b32 v10, a28
	v_mul_f64 v[6:7], v[6:7], s[0:1]
	v_mul_f64 v[0:1], v[0:1], s[0:1]
	v_accvgpr_read_b32 v11, a29
	v_cvt_f32_f64_e32 v6, v[6:7]
	v_cvt_f32_f64_e32 v7, v[0:1]
	v_mul_f32_e32 v0, v11, v3
	v_fmac_f32_e32 v0, v10, v2
	v_mad_u64_u32 v[4:5], s[6:7], s4, v8, v[4:5]
	v_cvt_f64_f32_e32 v[0:1], v0
	v_add_u32_e32 v5, s2, v5
	v_mul_f64 v[0:1], v[0:1], s[0:1]
	global_store_dwordx2 v[4:5], v[6:7], off
	v_cvt_f32_f64_e32 v6, v[0:1]
	v_mul_f32_e32 v0, v11, v2
	v_fma_f32 v0, v10, v3, -v0
	v_cvt_f64_f32_e32 v[0:1], v0
	v_mul_f64 v[0:1], v[0:1], s[0:1]
	v_cvt_f32_f64_e32 v7, v[0:1]
	ds_read2_b64 v[0:3], v172 offset0:204 offset1:238
	v_mad_u64_u32 v[4:5], s[6:7], s4, v8, v[4:5]
	v_accvgpr_read_b32 v10, a20
	v_add_u32_e32 v5, s2, v5
	v_accvgpr_read_b32 v11, a21
	global_store_dwordx2 v[4:5], v[6:7], off
	s_waitcnt lgkmcnt(0)
	v_mul_f32_e32 v6, v11, v1
	v_fmac_f32_e32 v6, v10, v0
	v_mul_f32_e32 v0, v11, v0
	v_fma_f32 v0, v10, v1, -v0
	v_cvt_f64_f32_e32 v[6:7], v6
	v_cvt_f64_f32_e32 v[0:1], v0
	v_accvgpr_read_b32 v10, a14
	v_mul_f64 v[6:7], v[6:7], s[0:1]
	v_mul_f64 v[0:1], v[0:1], s[0:1]
	v_accvgpr_read_b32 v11, a15
	v_cvt_f32_f64_e32 v6, v[6:7]
	v_cvt_f32_f64_e32 v7, v[0:1]
	v_mul_f32_e32 v0, v11, v3
	v_fmac_f32_e32 v0, v10, v2
	v_mad_u64_u32 v[4:5], s[6:7], s4, v8, v[4:5]
	v_cvt_f64_f32_e32 v[0:1], v0
	v_add_u32_e32 v5, s2, v5
	v_mul_f64 v[0:1], v[0:1], s[0:1]
	global_store_dwordx2 v[4:5], v[6:7], off
	v_cvt_f32_f64_e32 v6, v[0:1]
	v_mul_f32_e32 v0, v11, v2
	v_fma_f32 v0, v10, v3, -v0
	v_cvt_f64_f32_e32 v[0:1], v0
	v_mul_f64 v[0:1], v[0:1], s[0:1]
	v_add_u32_e32 v9, 0x800, v172
	v_cvt_f32_f64_e32 v7, v[0:1]
	ds_read2_b64 v[0:3], v9 offset0:16 offset1:50
	v_mad_u64_u32 v[4:5], s[6:7], s4, v8, v[4:5]
	v_accvgpr_read_b32 v10, a22
	v_add_u32_e32 v5, s2, v5
	v_accvgpr_read_b32 v11, a23
	global_store_dwordx2 v[4:5], v[6:7], off
	s_waitcnt lgkmcnt(0)
	v_mul_f32_e32 v6, v11, v1
	v_fmac_f32_e32 v6, v10, v0
	v_mul_f32_e32 v0, v11, v0
	v_fma_f32 v0, v10, v1, -v0
	v_cvt_f64_f32_e32 v[6:7], v6
	v_cvt_f64_f32_e32 v[0:1], v0
	v_accvgpr_read_b32 v10, a18
	v_mul_f64 v[6:7], v[6:7], s[0:1]
	v_mul_f64 v[0:1], v[0:1], s[0:1]
	v_accvgpr_read_b32 v11, a19
	v_cvt_f32_f64_e32 v6, v[6:7]
	v_cvt_f32_f64_e32 v7, v[0:1]
	v_mul_f32_e32 v0, v11, v3
	v_fmac_f32_e32 v0, v10, v2
	v_mad_u64_u32 v[4:5], s[6:7], s4, v8, v[4:5]
	v_cvt_f64_f32_e32 v[0:1], v0
	v_add_u32_e32 v5, s2, v5
	v_mul_f64 v[0:1], v[0:1], s[0:1]
	global_store_dwordx2 v[4:5], v[6:7], off
	v_cvt_f32_f64_e32 v6, v[0:1]
	v_mul_f32_e32 v0, v11, v2
	v_fma_f32 v0, v10, v3, -v0
	v_cvt_f64_f32_e32 v[0:1], v0
	v_mul_f64 v[0:1], v[0:1], s[0:1]
	v_cvt_f32_f64_e32 v7, v[0:1]
	ds_read2_b64 v[0:3], v9 offset0:84 offset1:118
	v_mad_u64_u32 v[4:5], s[6:7], s4, v8, v[4:5]
	v_accvgpr_read_b32 v10, a12
	v_add_u32_e32 v5, s2, v5
	v_accvgpr_read_b32 v11, a13
	global_store_dwordx2 v[4:5], v[6:7], off
	s_waitcnt lgkmcnt(0)
	v_mul_f32_e32 v6, v11, v1
	v_fmac_f32_e32 v6, v10, v0
	v_mul_f32_e32 v0, v11, v0
	v_fma_f32 v0, v10, v1, -v0
	v_cvt_f64_f32_e32 v[6:7], v6
	v_cvt_f64_f32_e32 v[0:1], v0
	v_mul_f64 v[6:7], v[6:7], s[0:1]
	v_mul_f64 v[0:1], v[0:1], s[0:1]
	v_accvgpr_read_b32 v11, a7
	v_cvt_f32_f64_e32 v6, v[6:7]
	v_cvt_f32_f64_e32 v7, v[0:1]
	v_accvgpr_read_b32 v10, a6
	v_mul_f32_e32 v0, v11, v3
	v_fmac_f32_e32 v0, v10, v2
	v_mad_u64_u32 v[4:5], s[6:7], s4, v8, v[4:5]
	v_cvt_f64_f32_e32 v[0:1], v0
	v_add_u32_e32 v5, s2, v5
	v_mul_f64 v[0:1], v[0:1], s[0:1]
	global_store_dwordx2 v[4:5], v[6:7], off
	v_cvt_f32_f64_e32 v6, v[0:1]
	v_mul_f32_e32 v0, v11, v2
	v_fma_f32 v0, v10, v3, -v0
	v_cvt_f64_f32_e32 v[0:1], v0
	v_mul_f64 v[0:1], v[0:1], s[0:1]
	v_cvt_f32_f64_e32 v7, v[0:1]
	ds_read2_b64 v[0:3], v9 offset0:152 offset1:186
	v_mad_u64_u32 v[4:5], s[6:7], s4, v8, v[4:5]
	v_accvgpr_read_b32 v10, a10
	v_add_u32_e32 v5, s2, v5
	v_accvgpr_read_b32 v11, a11
	global_store_dwordx2 v[4:5], v[6:7], off
	s_waitcnt lgkmcnt(0)
	v_mul_f32_e32 v6, v11, v1
	v_fmac_f32_e32 v6, v10, v0
	v_mul_f32_e32 v0, v11, v0
	v_fma_f32 v0, v10, v1, -v0
	v_cvt_f64_f32_e32 v[6:7], v6
	v_cvt_f64_f32_e32 v[0:1], v0
	v_mul_f64 v[6:7], v[6:7], s[0:1]
	v_mul_f64 v[0:1], v[0:1], s[0:1]
	v_accvgpr_read_b32 v11, a9
	v_cvt_f32_f64_e32 v6, v[6:7]
	v_cvt_f32_f64_e32 v7, v[0:1]
	v_accvgpr_read_b32 v10, a8
	v_mul_f32_e32 v0, v11, v3
	v_fmac_f32_e32 v0, v10, v2
	v_mad_u64_u32 v[4:5], s[6:7], s4, v8, v[4:5]
	v_cvt_f64_f32_e32 v[0:1], v0
	v_add_u32_e32 v5, s2, v5
	v_mul_f64 v[0:1], v[0:1], s[0:1]
	global_store_dwordx2 v[4:5], v[6:7], off
	v_cvt_f32_f64_e32 v6, v[0:1]
	v_mul_f32_e32 v0, v11, v2
	v_fma_f32 v0, v10, v3, -v0
	v_cvt_f64_f32_e32 v[0:1], v0
	v_mul_f64 v[0:1], v[0:1], s[0:1]
	v_cvt_f32_f64_e32 v7, v[0:1]
	ds_read2_b64 v[0:3], v9 offset0:220 offset1:254
	v_mad_u64_u32 v[4:5], s[6:7], s4, v8, v[4:5]
	v_add_u32_e32 v5, s2, v5
	v_accvgpr_read_b32 v11, a5
	global_store_dwordx2 v[4:5], v[6:7], off
	v_accvgpr_read_b32 v10, a4
	s_waitcnt lgkmcnt(0)
	v_mul_f32_e32 v6, v11, v1
	v_fmac_f32_e32 v6, v10, v0
	v_mul_f32_e32 v0, v11, v0
	v_fma_f32 v0, v10, v1, -v0
	v_cvt_f64_f32_e32 v[6:7], v6
	v_cvt_f64_f32_e32 v[0:1], v0
	v_mul_f64 v[6:7], v[6:7], s[0:1]
	v_mul_f64 v[0:1], v[0:1], s[0:1]
	v_cvt_f32_f64_e32 v6, v[6:7]
	v_cvt_f32_f64_e32 v7, v[0:1]
	v_mad_u64_u32 v[0:1], s[6:7], s4, v8, v[4:5]
	v_add_u32_e32 v1, s2, v1
	global_store_dwordx2 v[0:1], v[6:7], off
	v_accvgpr_read_b32 v7, a3
	v_accvgpr_read_b32 v6, a2
	v_mul_f32_e32 v4, v7, v3
	v_fmac_f32_e32 v4, v6, v2
	v_mul_f32_e32 v2, v7, v2
	v_fma_f32 v2, v6, v3, -v2
	v_cvt_f64_f32_e32 v[4:5], v4
	v_cvt_f64_f32_e32 v[2:3], v2
	v_mul_f64 v[4:5], v[4:5], s[0:1]
	v_mul_f64 v[2:3], v[2:3], s[0:1]
	v_cvt_f32_f64_e32 v4, v[4:5]
	v_cvt_f32_f64_e32 v5, v[2:3]
	ds_read_b64 v[2:3], v172 offset:4352
	v_mad_u64_u32 v[0:1], s[6:7], s4, v8, v[0:1]
	v_add_u32_e32 v1, s2, v1
	v_accvgpr_read_b32 v7, a1
	global_store_dwordx2 v[0:1], v[4:5], off
	v_accvgpr_read_b32 v6, a0
	s_waitcnt lgkmcnt(0)
	v_mul_f32_e32 v4, v7, v3
	v_fmac_f32_e32 v4, v6, v2
	v_mul_f32_e32 v2, v7, v2
	v_fma_f32 v2, v6, v3, -v2
	v_cvt_f64_f32_e32 v[4:5], v4
	v_cvt_f64_f32_e32 v[2:3], v2
	v_mul_f64 v[4:5], v[4:5], s[0:1]
	v_mul_f64 v[2:3], v[2:3], s[0:1]
	v_mad_u64_u32 v[0:1], s[0:1], s4, v8, v[0:1]
	v_cvt_f32_f64_e32 v4, v[4:5]
	v_cvt_f32_f64_e32 v5, v[2:3]
	v_add_u32_e32 v1, s2, v1
	global_store_dwordx2 v[0:1], v[4:5], off
.LBB0_10:
	s_endpgm
	.section	.rodata,"a",@progbits
	.p2align	6, 0x0
	.amdhsa_kernel bluestein_single_fwd_len578_dim1_sp_op_CI_CI
		.amdhsa_group_segment_fixed_size 32368
		.amdhsa_private_segment_fixed_size 0
		.amdhsa_kernarg_size 104
		.amdhsa_user_sgpr_count 2
		.amdhsa_user_sgpr_dispatch_ptr 0
		.amdhsa_user_sgpr_queue_ptr 0
		.amdhsa_user_sgpr_kernarg_segment_ptr 1
		.amdhsa_user_sgpr_dispatch_id 0
		.amdhsa_user_sgpr_kernarg_preload_length 0
		.amdhsa_user_sgpr_kernarg_preload_offset 0
		.amdhsa_user_sgpr_private_segment_size 0
		.amdhsa_uses_dynamic_stack 0
		.amdhsa_enable_private_segment 0
		.amdhsa_system_sgpr_workgroup_id_x 1
		.amdhsa_system_sgpr_workgroup_id_y 0
		.amdhsa_system_sgpr_workgroup_id_z 0
		.amdhsa_system_sgpr_workgroup_info 0
		.amdhsa_system_vgpr_workitem_id 0
		.amdhsa_next_free_vgpr 374
		.amdhsa_next_free_sgpr 80
		.amdhsa_accum_offset 256
		.amdhsa_reserve_vcc 1
		.amdhsa_float_round_mode_32 0
		.amdhsa_float_round_mode_16_64 0
		.amdhsa_float_denorm_mode_32 3
		.amdhsa_float_denorm_mode_16_64 3
		.amdhsa_dx10_clamp 1
		.amdhsa_ieee_mode 1
		.amdhsa_fp16_overflow 0
		.amdhsa_tg_split 0
		.amdhsa_exception_fp_ieee_invalid_op 0
		.amdhsa_exception_fp_denorm_src 0
		.amdhsa_exception_fp_ieee_div_zero 0
		.amdhsa_exception_fp_ieee_overflow 0
		.amdhsa_exception_fp_ieee_underflow 0
		.amdhsa_exception_fp_ieee_inexact 0
		.amdhsa_exception_int_div_zero 0
	.end_amdhsa_kernel
	.text
.Lfunc_end0:
	.size	bluestein_single_fwd_len578_dim1_sp_op_CI_CI, .Lfunc_end0-bluestein_single_fwd_len578_dim1_sp_op_CI_CI
                                        ; -- End function
	.section	.AMDGPU.csdata,"",@progbits
; Kernel info:
; codeLenInByte = 25304
; NumSgprs: 86
; NumVgprs: 256
; NumAgprs: 118
; TotalNumVgprs: 374
; ScratchSize: 0
; MemoryBound: 0
; FloatMode: 240
; IeeeMode: 1
; LDSByteSize: 32368 bytes/workgroup (compile time only)
; SGPRBlocks: 10
; VGPRBlocks: 46
; NumSGPRsForWavesPerEU: 86
; NumVGPRsForWavesPerEU: 374
; AccumOffset: 256
; Occupancy: 1
; WaveLimiterHint : 1
; COMPUTE_PGM_RSRC2:SCRATCH_EN: 0
; COMPUTE_PGM_RSRC2:USER_SGPR: 2
; COMPUTE_PGM_RSRC2:TRAP_HANDLER: 0
; COMPUTE_PGM_RSRC2:TGID_X_EN: 1
; COMPUTE_PGM_RSRC2:TGID_Y_EN: 0
; COMPUTE_PGM_RSRC2:TGID_Z_EN: 0
; COMPUTE_PGM_RSRC2:TIDIG_COMP_CNT: 0
; COMPUTE_PGM_RSRC3_GFX90A:ACCUM_OFFSET: 63
; COMPUTE_PGM_RSRC3_GFX90A:TG_SPLIT: 0
	.text
	.p2alignl 6, 3212836864
	.fill 256, 4, 3212836864
	.type	__hip_cuid_ac3de67ee3cd7bff,@object ; @__hip_cuid_ac3de67ee3cd7bff
	.section	.bss,"aw",@nobits
	.globl	__hip_cuid_ac3de67ee3cd7bff
__hip_cuid_ac3de67ee3cd7bff:
	.byte	0                               ; 0x0
	.size	__hip_cuid_ac3de67ee3cd7bff, 1

	.ident	"AMD clang version 19.0.0git (https://github.com/RadeonOpenCompute/llvm-project roc-6.4.0 25133 c7fe45cf4b819c5991fe208aaa96edf142730f1d)"
	.section	".note.GNU-stack","",@progbits
	.addrsig
	.addrsig_sym __hip_cuid_ac3de67ee3cd7bff
	.amdgpu_metadata
---
amdhsa.kernels:
  - .agpr_count:     118
    .args:
      - .actual_access:  read_only
        .address_space:  global
        .offset:         0
        .size:           8
        .value_kind:     global_buffer
      - .actual_access:  read_only
        .address_space:  global
        .offset:         8
        .size:           8
        .value_kind:     global_buffer
      - .actual_access:  read_only
        .address_space:  global
        .offset:         16
        .size:           8
        .value_kind:     global_buffer
      - .actual_access:  read_only
        .address_space:  global
        .offset:         24
        .size:           8
        .value_kind:     global_buffer
      - .actual_access:  read_only
        .address_space:  global
        .offset:         32
        .size:           8
        .value_kind:     global_buffer
      - .offset:         40
        .size:           8
        .value_kind:     by_value
      - .address_space:  global
        .offset:         48
        .size:           8
        .value_kind:     global_buffer
      - .address_space:  global
        .offset:         56
        .size:           8
        .value_kind:     global_buffer
      - .address_space:  global
        .offset:         64
        .size:           8
        .value_kind:     global_buffer
      - .address_space:  global
        .offset:         72
        .size:           8
        .value_kind:     global_buffer
      - .offset:         80
        .size:           4
        .value_kind:     by_value
      - .address_space:  global
        .offset:         88
        .size:           8
        .value_kind:     global_buffer
      - .address_space:  global
        .offset:         96
        .size:           8
        .value_kind:     global_buffer
    .group_segment_fixed_size: 32368
    .kernarg_segment_align: 8
    .kernarg_segment_size: 104
    .language:       OpenCL C
    .language_version:
      - 2
      - 0
    .max_flat_workgroup_size: 238
    .name:           bluestein_single_fwd_len578_dim1_sp_op_CI_CI
    .private_segment_fixed_size: 0
    .sgpr_count:     86
    .sgpr_spill_count: 0
    .symbol:         bluestein_single_fwd_len578_dim1_sp_op_CI_CI.kd
    .uniform_work_group_size: 1
    .uses_dynamic_stack: false
    .vgpr_count:     374
    .vgpr_spill_count: 2
    .wavefront_size: 64
amdhsa.target:   amdgcn-amd-amdhsa--gfx950
amdhsa.version:
  - 1
  - 2
...

	.end_amdgpu_metadata
